;; amdgpu-corpus repo=ROCm/rocFFT kind=compiled arch=gfx1100 opt=O3
	.text
	.amdgcn_target "amdgcn-amd-amdhsa--gfx1100"
	.amdhsa_code_object_version 6
	.protected	bluestein_single_back_len1372_dim1_dp_op_CI_CI ; -- Begin function bluestein_single_back_len1372_dim1_dp_op_CI_CI
	.globl	bluestein_single_back_len1372_dim1_dp_op_CI_CI
	.p2align	8
	.type	bluestein_single_back_len1372_dim1_dp_op_CI_CI,@function
bluestein_single_back_len1372_dim1_dp_op_CI_CI: ; @bluestein_single_back_len1372_dim1_dp_op_CI_CI
; %bb.0:
	s_load_b128 s[16:19], s[0:1], 0x28
	v_mul_u32_u24_e32 v1, 0x29d, v0
	v_mov_b32_e32 v3, 0
	s_mov_b32 s2, exec_lo
	s_delay_alu instid0(VALU_DEP_2) | instskip(NEXT) | instid1(VALU_DEP_1)
	v_lshrrev_b32_e32 v56, 16, v1
	v_lshl_add_u32 v2, s15, 1, v56
	s_waitcnt lgkmcnt(0)
	s_delay_alu instid0(VALU_DEP_1)
	v_cmpx_gt_u64_e64 s[16:17], v[2:3]
	s_cbranch_execz .LBB0_2
; %bb.1:
	s_clause 0x1
	s_load_b128 s[4:7], s[0:1], 0x18
	s_load_b128 s[8:11], s[0:1], 0x0
	v_mul_lo_u16 v1, 0x62, v56
	s_mov_b32 s24, 0x37e14327
	s_mov_b32 s21, 0x3fdc38aa
	;; [unrolled: 1-line block ×4, first 2 shown]
	v_sub_nc_u16 v142, v0, v1
	s_mov_b32 s16, 0x5476071b
	s_mov_b32 s28, 0xb247c609
	v_mov_b32_e32 v6, v2
	s_mov_b32 s17, 0x3fe77f67
	v_and_b32_e32 v255, 0xffff, v142
	s_mov_b32 s27, 0xbfe77f67
	s_mov_b32 s29, 0x3fd5d0dc
	scratch_store_b64 off, v[6:7], off      ; 8-byte Folded Spill
	s_mov_b32 s23, 0xbfd5d0dc
	v_lshlrev_b32_e32 v113, 4, v255
	v_add_co_u32 v143, null, 0x62, v255
	s_waitcnt lgkmcnt(0)
	s_load_b128 s[12:15], s[4:5], 0x0
	v_and_b32_e32 v144, 3, v255
	v_add_co_u32 v207, s2, s8, v113
	s_delay_alu instid0(VALU_DEP_1)
	v_add_co_ci_u32_e64 v208, null, s9, 0, s2
	v_and_b32_e32 v145, 3, v143
	s_mov_b32 s22, s28
	s_mov_b32 s26, s16
	s_load_b64 s[0:1], s[0:1], 0x38
	s_waitcnt lgkmcnt(0)
	v_mad_u64_u32 v[0:1], null, s14, v2, 0
	v_mad_u64_u32 v[2:3], null, s12, v255, 0
	s_mul_i32 s2, s13, 0x2ae0
	s_mul_hi_u32 s4, s12, 0x2ae0
	s_mul_i32 s3, s12, 0x2ae0
	s_add_i32 s2, s4, s2
	s_mul_hi_u32 s4, s12, 0xffffdb40
	s_mul_i32 s5, s13, 0xffffdb40
	s_delay_alu instid0(VALU_DEP_1)
	v_mad_u64_u32 v[4:5], null, s15, v6, v[1:2]
	s_sub_i32 s4, s4, s12
	s_mulk_i32 s12, 0xdb40
	s_add_i32 s4, s4, s5
	s_mov_b32 s14, 0xaaaaaaaa
	s_mov_b32 s15, 0xbff2aaaa
	s_delay_alu instid0(VALU_DEP_1) | instskip(SKIP_1) | instid1(VALU_DEP_1)
	v_mad_u64_u32 v[5:6], null, s13, v255, v[3:4]
	v_mov_b32_e32 v1, v4
	v_lshlrev_b64 v[0:1], 4, v[0:1]
	s_delay_alu instid0(VALU_DEP_3) | instskip(NEXT) | instid1(VALU_DEP_2)
	v_mov_b32_e32 v3, v5
	v_add_co_u32 v0, vcc_lo, s18, v0
	s_delay_alu instid0(VALU_DEP_2) | instskip(NEXT) | instid1(VALU_DEP_4)
	v_lshlrev_b64 v[2:3], 4, v[2:3]
	v_add_co_ci_u32_e32 v1, vcc_lo, s19, v1, vcc_lo
	s_mov_b32 s19, 0xbfe11646
	s_mov_b32 s18, 0xe976ee23
	s_delay_alu instid0(VALU_DEP_2) | instskip(NEXT) | instid1(VALU_DEP_2)
	v_add_co_u32 v0, vcc_lo, v0, v2
	v_add_co_ci_u32_e32 v1, vcc_lo, v1, v3, vcc_lo
	global_load_b128 v[16:19], v113, s[8:9]
	global_load_b128 v[8:11], v[0:1], off
	v_add_co_u32 v2, vcc_lo, 0x2000, v207
	v_add_co_ci_u32_e32 v3, vcc_lo, 0, v208, vcc_lo
	v_add_co_u32 v0, vcc_lo, v0, s3
	v_add_co_ci_u32_e32 v1, vcc_lo, s2, v1, vcc_lo
	global_load_b128 v[20:23], v[2:3], off offset:2784
	global_load_b128 v[12:15], v[0:1], off
	v_add_co_u32 v0, vcc_lo, v0, s12
	v_add_co_ci_u32_e32 v1, vcc_lo, s4, v1, vcc_lo
	s_waitcnt vmcnt(3)
	v_mov_b32_e32 v27, v19
	s_waitcnt vmcnt(2)
	v_mul_f64 v[4:5], v[10:11], v[18:19]
	v_dual_mov_b32 v25, v17 :: v_dual_mov_b32 v24, v16
	v_mul_f64 v[6:7], v[8:9], v[18:19]
	v_mov_b32_e32 v26, v18
	scratch_store_b128 off, v[24:27], off offset:200 ; 16-byte Folded Spill
	s_waitcnt vmcnt(1)
	scratch_store_b128 off, v[20:23], off offset:8 ; 16-byte Folded Spill
	s_waitcnt vmcnt(0)
	v_mul_f64 v[16:17], v[14:15], v[22:23]
	v_fma_f64 v[57:58], v[8:9], v[24:25], v[4:5]
	v_mul_f64 v[4:5], v[12:13], v[22:23]
	v_fma_f64 v[59:60], v[10:11], v[24:25], -v[6:7]
	global_load_b128 v[8:11], v113, s[8:9] offset:1568
	v_fma_f64 v[61:62], v[12:13], v[20:21], v[16:17]
	v_fma_f64 v[63:64], v[14:15], v[20:21], -v[4:5]
	global_load_b128 v[12:15], v[0:1], off
	v_add_co_u32 v0, vcc_lo, v0, s3
	v_add_co_ci_u32_e32 v1, vcc_lo, s2, v1, vcc_lo
	global_load_b128 v[16:19], v[0:1], off
	s_waitcnt vmcnt(2)
	scratch_store_b128 off, v[8:11], off offset:24 ; 16-byte Folded Spill
	s_waitcnt vmcnt(1)
	v_mul_f64 v[4:5], v[14:15], v[10:11]
	v_mul_f64 v[6:7], v[12:13], v[10:11]
	s_delay_alu instid0(VALU_DEP_2) | instskip(SKIP_2) | instid1(VALU_DEP_4)
	v_fma_f64 v[65:66], v[12:13], v[8:9], v[4:5]
	v_add_co_u32 v4, vcc_lo, 0x3000, v207
	v_add_co_ci_u32_e32 v5, vcc_lo, 0, v208, vcc_lo
	v_fma_f64 v[67:68], v[14:15], v[8:9], -v[6:7]
	v_add_co_u32 v0, vcc_lo, v0, s12
	global_load_b128 v[10:13], v[4:5], off offset:256
	v_add_co_ci_u32_e32 v1, vcc_lo, s4, v1, vcc_lo
	global_load_b128 v[20:23], v[0:1], off
	v_add_co_u32 v0, vcc_lo, v0, s3
	v_add_co_ci_u32_e32 v1, vcc_lo, s2, v1, vcc_lo
	global_load_b128 v[24:27], v[0:1], off
	v_add_co_u32 v0, vcc_lo, v0, s12
	v_add_co_ci_u32_e32 v1, vcc_lo, s4, v1, vcc_lo
	global_load_b128 v[28:31], v[0:1], off
	s_waitcnt vmcnt(3)
	v_mul_f64 v[6:7], v[18:19], v[12:13]
	v_mul_f64 v[8:9], v[16:17], v[12:13]
	scratch_store_b128 off, v[10:13], off offset:40 ; 16-byte Folded Spill
	v_fma_f64 v[69:70], v[16:17], v[10:11], v[6:7]
	v_fma_f64 v[71:72], v[18:19], v[10:11], -v[8:9]
	global_load_b128 v[10:13], v113, s[8:9] offset:3136
	s_mov_b32 s9, 0x3febfeb5
	s_waitcnt vmcnt(0)
	v_mul_f64 v[6:7], v[22:23], v[12:13]
	v_mul_f64 v[8:9], v[20:21], v[12:13]
	scratch_store_b128 off, v[10:13], off offset:56 ; 16-byte Folded Spill
	v_fma_f64 v[73:74], v[20:21], v[10:11], v[6:7]
	v_fma_f64 v[75:76], v[22:23], v[10:11], -v[8:9]
	global_load_b128 v[10:13], v[4:5], off offset:1824
	s_waitcnt vmcnt(0)
	v_mul_f64 v[6:7], v[26:27], v[12:13]
	scratch_store_b128 off, v[10:13], off offset:72 ; 16-byte Folded Spill
	v_mul_f64 v[8:9], v[24:25], v[12:13]
	v_fma_f64 v[77:78], v[24:25], v[10:11], v[6:7]
	v_add_co_u32 v6, vcc_lo, 0x1000, v207
	v_add_co_ci_u32_e32 v7, vcc_lo, 0, v208, vcc_lo
	s_delay_alu instid0(VALU_DEP_4)
	v_fma_f64 v[79:80], v[26:27], v[10:11], -v[8:9]
	v_add_co_u32 v0, vcc_lo, v0, s3
	global_load_b128 v[12:15], v[6:7], off offset:608
	v_add_co_ci_u32_e32 v1, vcc_lo, s2, v1, vcc_lo
	global_load_b128 v[32:35], v[0:1], off
	v_add_co_u32 v0, vcc_lo, v0, s12
	v_add_co_ci_u32_e32 v1, vcc_lo, s4, v1, vcc_lo
	global_load_b128 v[36:39], v[0:1], off
	v_add_co_u32 v0, vcc_lo, v0, s3
	v_add_co_ci_u32_e32 v1, vcc_lo, s2, v1, vcc_lo
	global_load_b128 v[40:43], v[0:1], off
	s_waitcnt vmcnt(3)
	v_mul_f64 v[8:9], v[30:31], v[14:15]
	v_mul_f64 v[10:11], v[28:29], v[14:15]
	scratch_store_b128 off, v[12:15], off offset:88 ; 16-byte Folded Spill
	v_fma_f64 v[81:82], v[28:29], v[12:13], v[8:9]
	v_fma_f64 v[83:84], v[30:31], v[12:13], -v[10:11]
	global_load_b128 v[10:13], v[4:5], off offset:3392
	v_lshlrev_b32_e32 v28, 1, v255
	s_waitcnt vmcnt(0)
	v_mul_f64 v[4:5], v[34:35], v[12:13]
	v_mul_f64 v[8:9], v[32:33], v[12:13]
	scratch_store_b128 off, v[10:13], off offset:104 ; 16-byte Folded Spill
	v_fma_f64 v[85:86], v[32:33], v[10:11], v[4:5]
	v_fma_f64 v[87:88], v[34:35], v[10:11], -v[8:9]
	global_load_b128 v[10:13], v[6:7], off offset:2176
	s_waitcnt vmcnt(0)
	v_mul_f64 v[4:5], v[38:39], v[12:13]
	scratch_store_b128 off, v[10:13], off offset:120 ; 16-byte Folded Spill
	v_mul_f64 v[8:9], v[36:37], v[12:13]
	v_fma_f64 v[89:90], v[36:37], v[10:11], v[4:5]
	v_add_co_u32 v4, vcc_lo, 0x4000, v207
	v_add_co_ci_u32_e32 v5, vcc_lo, 0, v208, vcc_lo
	s_delay_alu instid0(VALU_DEP_4)
	v_fma_f64 v[91:92], v[38:39], v[10:11], -v[8:9]
	v_add_co_u32 v0, vcc_lo, v0, s12
	global_load_b128 v[12:15], v[4:5], off offset:864
	v_add_co_ci_u32_e32 v1, vcc_lo, s4, v1, vcc_lo
	global_load_b128 v[44:47], v[0:1], off
	v_add_co_u32 v0, vcc_lo, v0, s3
	v_add_co_ci_u32_e32 v1, vcc_lo, s2, v1, vcc_lo
	global_load_b128 v[48:51], v[0:1], off
	v_add_co_u32 v0, vcc_lo, v0, s12
	v_add_co_ci_u32_e32 v1, vcc_lo, s4, v1, vcc_lo
	s_mov_b32 s12, 0x429ad128
	s_mov_b32 s13, 0xbfebfeb5
	;; [unrolled: 1-line block ×3, first 2 shown]
	global_load_b128 v[52:55], v[0:1], off
	v_add_co_u32 v0, vcc_lo, v0, s3
	v_add_co_ci_u32_e32 v1, vcc_lo, s2, v1, vcc_lo
	s_mov_b32 s2, 0x36b3c0b5
	s_mov_b32 s3, 0x3fac98ee
	global_load_b128 v[109:112], v[0:1], off
	s_waitcnt vmcnt(4)
	v_mul_f64 v[8:9], v[42:43], v[14:15]
	v_mul_f64 v[10:11], v[40:41], v[14:15]
	scratch_store_b128 off, v[12:15], off offset:136 ; 16-byte Folded Spill
	v_fma_f64 v[93:94], v[40:41], v[12:13], v[8:9]
	v_fma_f64 v[95:96], v[42:43], v[12:13], -v[10:11]
	global_load_b128 v[10:13], v[6:7], off offset:3744
	s_waitcnt vmcnt(0)
	v_mul_f64 v[6:7], v[46:47], v[12:13]
	v_mul_f64 v[8:9], v[44:45], v[12:13]
	scratch_store_b128 off, v[10:13], off offset:152 ; 16-byte Folded Spill
	v_fma_f64 v[97:98], v[44:45], v[10:11], v[6:7]
	v_fma_f64 v[99:100], v[46:47], v[10:11], -v[8:9]
	global_load_b128 v[10:13], v[4:5], off offset:2432
	;; [unrolled: 7-line block ×3, first 2 shown]
	s_waitcnt vmcnt(0)
	v_mul_f64 v[6:7], v[52:53], v[10:11]
	v_mul_f64 v[2:3], v[54:55], v[10:11]
	s_delay_alu instid0(VALU_DEP_2)
	v_fma_f64 v[107:108], v[54:55], v[8:9], -v[6:7]
	global_load_b128 v[4:7], v[4:5], off offset:4000
	v_fma_f64 v[105:106], v[52:53], v[8:9], v[2:3]
	scratch_store_b128 off, v[8:11], off offset:184 ; 16-byte Folded Spill
	s_waitcnt vmcnt(0)
	scratch_store_b128 off, v[4:7], off offset:216 ; 16-byte Folded Spill
	v_mul_f64 v[0:1], v[111:112], v[6:7]
	v_mul_f64 v[2:3], v[109:110], v[6:7]
	s_delay_alu instid0(VALU_DEP_2) | instskip(NEXT) | instid1(VALU_DEP_2)
	v_fma_f64 v[109:110], v[109:110], v[4:5], v[0:1]
	v_fma_f64 v[111:112], v[111:112], v[4:5], -v[2:3]
	v_and_b32_e32 v0, 1, v56
	s_delay_alu instid0(VALU_DEP_1) | instskip(SKIP_1) | instid1(VALU_DEP_1)
	v_cmp_eq_u32_e32 vcc_lo, 1, v0
	v_cndmask_b32_e64 v156, 0, 0x55c0, vcc_lo
	v_add_nc_u32_e32 v206, v156, v113
	ds_store_b128 v206, v[57:60]
	ds_store_b128 v206, v[61:64] offset:10976
	ds_store_b128 v206, v[65:68] offset:1568
	;; [unrolled: 1-line block ×13, first 2 shown]
	s_load_b128 s[4:7], s[6:7], 0x0
	s_waitcnt lgkmcnt(0)
	s_waitcnt_vscnt null, 0x0
	s_barrier
	buffer_gl0_inv
	ds_load_b128 v[56:59], v206 offset:10976
	ds_load_b128 v[60:63], v206
	ds_load_b128 v[64:67], v206 offset:1568
	ds_load_b128 v[68:71], v206 offset:12544
	;; [unrolled: 1-line block ×12, first 2 shown]
	v_lshl_add_u32 v0, v255, 5, v156
	s_waitcnt lgkmcnt(0)
	s_barrier
	buffer_gl0_inv
	scratch_store_b32 off, v0, off offset:256 ; 4-byte Folded Spill
	v_add_f64 v[56:57], v[60:61], -v[56:57]
	v_add_f64 v[58:59], v[62:63], -v[58:59]
	;; [unrolled: 1-line block ×14, first 2 shown]
	v_fma_f64 v[60:61], v[60:61], 2.0, -v[56:57]
	v_fma_f64 v[62:63], v[62:63], 2.0, -v[58:59]
	;; [unrolled: 1-line block ×14, first 2 shown]
	ds_store_b128 v0, v[56:59] offset:16
	ds_store_b128 v0, v[60:63]
	v_lshl_add_u32 v0, v143, 5, v156
	v_add_nc_u32_e32 v60, 0x188, v28
	v_add_nc_u32_e32 v61, 0x24c, v28
	;; [unrolled: 1-line block ×4, first 2 shown]
	scratch_store_b32 off, v0, off offset:252 ; 4-byte Folded Spill
	ds_store_b128 v0, v[64:67]
	ds_store_b128 v0, v[68:71] offset:16
	v_lshl_add_u32 v0, v60, 4, v156
	v_add_nc_u32_e32 v64, 0x498, v28
	v_and_b32_e32 v65, 1, v255
	scratch_store_b32 off, v0, off offset:248 ; 4-byte Folded Spill
	ds_store_b128 v0, v[76:79]
	ds_store_b128 v0, v[72:75] offset:16
	v_lshl_add_u32 v0, v61, 4, v156
	scratch_store_b32 off, v0, off offset:244 ; 4-byte Folded Spill
	ds_store_b128 v0, v[80:83]
	ds_store_b128 v0, v[84:87] offset:16
	v_lshl_add_u32 v0, v62, 4, v156
	;; [unrolled: 4-line block ×4, first 2 shown]
	scratch_store_b32 off, v0, off offset:232 ; 4-byte Folded Spill
	ds_store_b128 v0, v[104:107]
	ds_store_b128 v0, v[108:111] offset:16
	v_lshlrev_b32_e32 v0, 4, v65
	s_waitcnt lgkmcnt(0)
	s_waitcnt_vscnt null, 0x0
	s_barrier
	buffer_gl0_inv
	ds_load_b128 v[66:69], v206 offset:10976
	ds_load_b128 v[114:117], v206 offset:9408
	global_load_b128 v[56:59], v0, s[10:11]
	ds_load_b128 v[82:85], v206 offset:3136
	ds_load_b128 v[90:93], v206 offset:4704
	;; [unrolled: 1-line block ×5, first 2 shown]
	s_waitcnt vmcnt(0) lgkmcnt(6)
	v_mul_f64 v[0:1], v[68:69], v[58:59]
	v_mul_f64 v[2:3], v[66:67], v[58:59]
	s_delay_alu instid0(VALU_DEP_2) | instskip(NEXT) | instid1(VALU_DEP_2)
	v_fma_f64 v[0:1], v[66:67], v[56:57], -v[0:1]
	v_fma_f64 v[2:3], v[68:69], v[56:57], v[2:3]
	ds_load_b128 v[66:69], v206 offset:12544
	s_waitcnt lgkmcnt(0)
	v_mul_f64 v[4:5], v[68:69], v[58:59]
	v_mul_f64 v[6:7], v[66:67], v[58:59]
	s_delay_alu instid0(VALU_DEP_2) | instskip(NEXT) | instid1(VALU_DEP_2)
	v_fma_f64 v[4:5], v[66:67], v[56:57], -v[4:5]
	v_fma_f64 v[6:7], v[68:69], v[56:57], v[6:7]
	ds_load_b128 v[66:69], v206 offset:14112
	s_waitcnt lgkmcnt(0)
	v_mul_f64 v[8:9], v[68:69], v[58:59]
	v_mul_f64 v[10:11], v[66:67], v[58:59]
	v_add_f64 v[78:79], v[74:75], -v[4:5]
	v_add_f64 v[80:81], v[76:77], -v[6:7]
	s_delay_alu instid0(VALU_DEP_4) | instskip(NEXT) | instid1(VALU_DEP_4)
	v_fma_f64 v[8:9], v[66:67], v[56:57], -v[8:9]
	v_fma_f64 v[10:11], v[68:69], v[56:57], v[10:11]
	ds_load_b128 v[66:69], v206 offset:15680
	v_fma_f64 v[74:75], v[74:75], 2.0, -v[78:79]
	v_fma_f64 v[76:77], v[76:77], 2.0, -v[80:81]
	s_waitcnt lgkmcnt(0)
	v_mul_f64 v[12:13], v[68:69], v[58:59]
	v_mul_f64 v[14:15], v[66:67], v[58:59]
	v_add_f64 v[86:87], v[82:83], -v[8:9]
	v_add_f64 v[88:89], v[84:85], -v[10:11]
	s_delay_alu instid0(VALU_DEP_4) | instskip(NEXT) | instid1(VALU_DEP_4)
	v_fma_f64 v[12:13], v[66:67], v[56:57], -v[12:13]
	v_fma_f64 v[14:15], v[68:69], v[56:57], v[14:15]
	ds_load_b128 v[66:69], v206 offset:17248
	v_fma_f64 v[82:83], v[82:83], 2.0, -v[86:87]
	v_fma_f64 v[84:85], v[84:85], 2.0, -v[88:89]
	;; [unrolled: 11-line block ×3, first 2 shown]
	s_waitcnt lgkmcnt(0)
	v_mul_f64 v[20:21], v[68:69], v[58:59]
	v_mul_f64 v[22:23], v[66:67], v[58:59]
	v_add_f64 v[102:103], v[98:99], -v[16:17]
	v_add_f64 v[104:105], v[100:101], -v[18:19]
	v_mad_u64_u32 v[18:19], null, 0x60, v145, s[10:11]
	v_fma_f64 v[20:21], v[66:67], v[56:57], -v[20:21]
	v_fma_f64 v[22:23], v[68:69], v[56:57], v[22:23]
	ds_load_b128 v[66:69], v206 offset:20384
	v_fma_f64 v[98:99], v[98:99], 2.0, -v[102:103]
	v_fma_f64 v[100:101], v[100:101], 2.0, -v[104:105]
	s_waitcnt lgkmcnt(0)
	v_mul_f64 v[24:25], v[68:69], v[58:59]
	v_mul_f64 v[26:27], v[66:67], v[58:59]
	v_add_f64 v[110:111], v[106:107], -v[20:21]
	v_add_f64 v[112:113], v[108:109], -v[22:23]
	s_delay_alu instid0(VALU_DEP_4) | instskip(NEXT) | instid1(VALU_DEP_4)
	v_fma_f64 v[24:25], v[66:67], v[56:57], -v[24:25]
	v_fma_f64 v[26:27], v[68:69], v[56:57], v[26:27]
	ds_load_b128 v[66:69], v206
	v_fma_f64 v[106:107], v[106:107], 2.0, -v[110:111]
	v_fma_f64 v[108:109], v[108:109], 2.0, -v[112:113]
	s_waitcnt lgkmcnt(0)
	v_add_f64 v[70:71], v[66:67], -v[0:1]
	v_add_f64 v[72:73], v[68:69], -v[2:3]
	v_and_or_b32 v0, 0xfc, v28, v65
	s_delay_alu instid0(VALU_DEP_1)
	v_lshl_add_u32 v0, v0, 4, v156
	scratch_store_b32 off, v0, off offset:284 ; 4-byte Folded Spill
	s_waitcnt_vscnt null, 0x0
	s_barrier
	buffer_gl0_inv
	v_add_f64 v[118:119], v[114:115], -v[24:25]
	v_add_f64 v[120:121], v[116:117], -v[26:27]
	v_fma_f64 v[66:67], v[66:67], 2.0, -v[70:71]
	v_fma_f64 v[68:69], v[68:69], 2.0, -v[72:73]
	ds_store_b128 v0, v[70:73] offset:32
	ds_store_b128 v0, v[66:69]
	v_lshlrev_b32_e32 v0, 1, v143
	v_fma_f64 v[114:115], v[114:115], 2.0, -v[118:119]
	v_fma_f64 v[116:117], v[116:117], 2.0, -v[120:121]
	s_delay_alu instid0(VALU_DEP_3) | instskip(NEXT) | instid1(VALU_DEP_1)
	v_and_or_b32 v0, 0x1fc, v0, v65
	v_lshl_add_u32 v0, v0, 4, v156
	scratch_store_b32 off, v0, off offset:280 ; 4-byte Folded Spill
	ds_store_b128 v0, v[74:77]
	ds_store_b128 v0, v[78:81] offset:32
	v_and_or_b32 v0, 0x3fc, v60, v65
	s_delay_alu instid0(VALU_DEP_1) | instskip(SKIP_4) | instid1(VALU_DEP_1)
	v_lshl_add_u32 v0, v0, 4, v156
	scratch_store_b32 off, v0, off offset:276 ; 4-byte Folded Spill
	ds_store_b128 v0, v[82:85]
	ds_store_b128 v0, v[86:89] offset:32
	v_and_or_b32 v0, 0x3fc, v61, v65
	v_lshl_add_u32 v0, v0, 4, v156
	scratch_store_b32 off, v0, off offset:272 ; 4-byte Folded Spill
	ds_store_b128 v0, v[90:93]
	ds_store_b128 v0, v[94:97] offset:32
	v_and_or_b32 v0, 0x7fc, v62, v65
	s_delay_alu instid0(VALU_DEP_1) | instskip(SKIP_4) | instid1(VALU_DEP_1)
	v_lshl_add_u32 v0, v0, 4, v156
	scratch_store_b32 off, v0, off offset:268 ; 4-byte Folded Spill
	ds_store_b128 v0, v[98:101]
	ds_store_b128 v0, v[102:105] offset:32
	v_and_or_b32 v0, 0x7fc, v63, v65
	v_lshl_add_u32 v0, v0, 4, v156
	scratch_store_b32 off, v0, off offset:264 ; 4-byte Folded Spill
	ds_store_b128 v0, v[106:109]
	ds_store_b128 v0, v[110:113] offset:32
	v_and_or_b32 v0, 0x5fc, v64, v65
	s_delay_alu instid0(VALU_DEP_1)
	v_lshl_add_u32 v0, v0, 4, v156
	scratch_store_b32 off, v0, off offset:260 ; 4-byte Folded Spill
	ds_store_b128 v0, v[114:117]
	ds_store_b128 v0, v[118:121] offset:32
	v_mad_u64_u32 v[0:1], null, 0x60, v144, s[10:11]
	s_waitcnt lgkmcnt(0)
	s_waitcnt_vscnt null, 0x0
	s_barrier
	buffer_gl0_inv
	s_clause 0x1
	global_load_b128 v[88:91], v[18:19], off offset:32
	global_load_b128 v[96:99], v[18:19], off offset:48
	ds_load_b128 v[68:71], v206 offset:18816
	s_clause 0x6
	global_load_b128 v[217:220], v[0:1], off offset:112
	global_load_b128 v[100:103], v[0:1], off offset:96
	;; [unrolled: 1-line block ×7, first 2 shown]
	ds_load_b128 v[64:67], v206 offset:3136
	s_clause 0x1
	global_load_b128 v[76:79], v[0:1], off offset:64
	global_load_b128 v[84:87], v[0:1], off offset:80
	ds_load_b128 v[92:95], v206 offset:10976
	ds_load_b128 v[108:111], v206 offset:14112
	s_waitcnt vmcnt(8) lgkmcnt(3)
	v_mul_f64 v[10:11], v[70:71], v[219:220]
	v_mul_f64 v[12:13], v[68:69], v[219:220]
	s_waitcnt vmcnt(2) lgkmcnt(1)
	v_mul_f64 v[26:27], v[94:95], v[215:216]
	s_delay_alu instid0(VALU_DEP_3) | instskip(NEXT) | instid1(VALU_DEP_3)
	v_fma_f64 v[10:11], v[68:69], v[217:218], -v[10:11]
	v_fma_f64 v[12:13], v[70:71], v[217:218], v[12:13]
	ds_load_b128 v[68:71], v206 offset:15680
	v_fma_f64 v[134:135], v[92:93], v[213:214], -v[26:27]
	v_mul_f64 v[26:27], v[92:93], v[215:216]
	s_waitcnt lgkmcnt(0)
	v_mul_f64 v[14:15], v[70:71], v[102:103]
	v_mul_f64 v[16:17], v[68:69], v[102:103]
	s_delay_alu instid0(VALU_DEP_3)
	v_fma_f64 v[132:133], v[94:95], v[213:214], v[26:27]
	global_load_b128 v[92:95], v[18:19], off offset:80
	v_fma_f64 v[14:15], v[68:69], v[100:101], -v[14:15]
	v_fma_f64 v[16:17], v[70:71], v[100:101], v[16:17]
	ds_load_b128 v[68:71], v206 offset:4704
	v_mul_f64 v[2:3], v[66:67], v[223:224]
	v_mul_f64 v[4:5], v[64:65], v[223:224]
	s_waitcnt lgkmcnt(0)
	v_mul_f64 v[20:21], v[70:71], v[90:91]
	s_delay_alu instid0(VALU_DEP_3) | instskip(NEXT) | instid1(VALU_DEP_3)
	v_fma_f64 v[2:3], v[64:65], v[221:222], -v[2:3]
	v_fma_f64 v[4:5], v[66:67], v[221:222], v[4:5]
	ds_load_b128 v[64:67], v206 offset:6272
	v_fma_f64 v[118:119], v[68:69], v[88:89], -v[20:21]
	v_mul_f64 v[20:21], v[68:69], v[90:91]
	v_add_f64 v[140:141], v[2:3], v[10:11]
	v_add_f64 v[30:31], v[4:5], v[12:13]
	v_add_f64 v[2:3], v[2:3], -v[10:11]
	v_add_f64 v[4:5], v[4:5], -v[12:13]
	v_fma_f64 v[116:117], v[70:71], v[88:89], v[20:21]
	ds_load_b128 v[68:71], v206 offset:7840
	s_waitcnt lgkmcnt(1)
	v_mul_f64 v[8:9], v[64:65], v[106:107]
	v_mul_f64 v[6:7], v[66:67], v[106:107]
	s_waitcnt lgkmcnt(0)
	v_mul_f64 v[20:21], v[70:71], v[98:99]
	s_delay_alu instid0(VALU_DEP_3) | instskip(NEXT) | instid1(VALU_DEP_3)
	v_fma_f64 v[8:9], v[66:67], v[104:105], v[8:9]
	v_fma_f64 v[6:7], v[64:65], v[104:105], -v[6:7]
	s_delay_alu instid0(VALU_DEP_3) | instskip(SKIP_1) | instid1(VALU_DEP_4)
	v_fma_f64 v[122:123], v[68:69], v[96:97], -v[20:21]
	v_mul_f64 v[20:21], v[68:69], v[98:99]
	v_add_f64 v[146:147], v[8:9], v[16:17]
	v_add_f64 v[8:9], v[8:9], -v[16:17]
	s_delay_alu instid0(VALU_DEP_3) | instskip(SKIP_4) | instid1(VALU_DEP_1)
	v_fma_f64 v[120:121], v[70:71], v[96:97], v[20:21]
	ds_load_b128 v[68:71], v206 offset:20384
	v_add_f64 v[157:158], v[146:147], -v[30:31]
	s_waitcnt lgkmcnt(0)
	v_mul_f64 v[20:21], v[70:71], v[82:83]
	v_fma_f64 v[126:127], v[68:69], v[80:81], -v[20:21]
	v_mul_f64 v[20:21], v[68:69], v[82:83]
	s_delay_alu instid0(VALU_DEP_2) | instskip(NEXT) | instid1(VALU_DEP_2)
	v_add_f64 v[173:174], v[118:119], v[126:127]
	v_fma_f64 v[124:125], v[70:71], v[80:81], v[20:21]
	ds_load_b128 v[68:71], v206 offset:17248
	s_waitcnt vmcnt(0)
	v_mul_f64 v[18:19], v[110:111], v[94:95]
	s_waitcnt lgkmcnt(0)
	v_mul_f64 v[20:21], v[70:71], v[74:75]
	v_add_f64 v[181:182], v[116:117], v[124:125]
	s_delay_alu instid0(VALU_DEP_3)
	v_fma_f64 v[138:139], v[108:109], v[92:93], -v[18:19]
	v_mul_f64 v[18:19], v[108:109], v[94:95]
	v_add_f64 v[108:109], v[146:147], v[30:31]
	v_fma_f64 v[130:131], v[68:69], v[72:73], -v[20:21]
	v_mul_f64 v[20:21], v[68:69], v[74:75]
	v_add_f64 v[177:178], v[134:135], v[138:139]
	v_fma_f64 v[136:137], v[110:111], v[92:93], v[18:19]
	v_add_f64 v[18:19], v[6:7], v[14:15]
	v_add_f64 v[6:7], v[6:7], -v[14:15]
	v_add_f64 v[175:176], v[122:123], v[130:131]
	v_fma_f64 v[128:129], v[70:71], v[72:73], v[20:21]
	ds_load_b128 v[68:71], v206 offset:9408
	s_waitcnt lgkmcnt(0)
	v_mul_f64 v[20:21], v[70:71], v[78:79]
	v_mul_f64 v[22:23], v[68:69], v[78:79]
	v_add_f64 v[185:186], v[132:133], v[136:137]
	v_add_f64 v[28:29], v[18:19], v[140:141]
	v_add_f64 v[14:15], v[6:7], -v[2:3]
	v_add_f64 v[112:113], v[175:176], v[173:174]
	v_add_f64 v[183:184], v[120:121], v[128:129]
	v_fma_f64 v[20:21], v[68:69], v[76:77], -v[20:21]
	v_fma_f64 v[22:23], v[70:71], v[76:77], v[22:23]
	ds_load_b128 v[68:71], v206 offset:12544
	v_add_f64 v[179:180], v[177:178], v[112:113]
	v_add_f64 v[112:113], v[183:184], v[181:182]
	s_waitcnt lgkmcnt(0)
	v_mul_f64 v[0:1], v[70:71], v[86:87]
	v_mul_f64 v[24:25], v[68:69], v[86:87]
	s_delay_alu instid0(VALU_DEP_3)
	v_add_f64 v[187:188], v[185:186], v[112:113]
	ds_load_b128 v[112:115], v206 offset:1568
	v_fma_f64 v[0:1], v[68:69], v[84:85], -v[0:1]
	v_fma_f64 v[24:25], v[70:71], v[84:85], v[24:25]
	s_waitcnt lgkmcnt(0)
	v_add_f64 v[112:113], v[112:113], v[179:180]
	v_add_f64 v[114:115], v[114:115], v[187:188]
	s_delay_alu instid0(VALU_DEP_4) | instskip(NEXT) | instid1(VALU_DEP_4)
	v_add_f64 v[26:27], v[20:21], v[0:1]
	v_add_f64 v[154:155], v[22:23], v[24:25]
	v_add_f64 v[0:1], v[0:1], -v[20:21]
	v_add_f64 v[10:11], v[24:25], -v[22:23]
	;; [unrolled: 1-line block ×3, first 2 shown]
	v_add_f64 v[28:29], v[26:27], v[28:29]
	v_add_f64 v[148:149], v[154:155], v[108:109]
	v_add_f64 v[12:13], v[0:1], -v[6:7]
	ds_load_b128 v[108:111], v206
	v_add_f64 v[6:7], v[0:1], v[6:7]
	v_add_f64 v[16:17], v[10:11], -v[8:9]
	v_add_f64 v[8:9], v[10:11], v[8:9]
	v_add_f64 v[22:23], v[26:27], -v[18:19]
	v_add_f64 v[24:25], v[154:155], -v[146:147]
	;; [unrolled: 1-line block ×6, first 2 shown]
	s_waitcnt lgkmcnt(0)
	s_barrier
	buffer_gl0_inv
	v_add_f64 v[108:109], v[108:109], v[28:29]
	v_add_f64 v[110:111], v[110:111], v[148:149]
	v_mul_f64 v[12:13], v[12:13], s[18:19]
	v_add_f64 v[6:7], v[6:7], v[2:3]
	v_mul_f64 v[16:17], v[16:17], s[18:19]
	;; [unrolled: 2-line block ×3, first 2 shown]
	v_mul_f64 v[150:151], v[24:25], s[2:3]
	v_add_f64 v[2:3], v[4:5], -v[10:11]
	v_mul_f64 v[4:5], v[14:15], s[12:13]
	v_mul_f64 v[10:11], v[20:21], s[12:13]
	v_fma_f64 v[28:29], v[28:29], s[14:15], v[108:109]
	v_fma_f64 v[165:166], v[148:149], s[14:15], v[110:111]
	v_fma_f64 v[148:149], v[14:15], s[8:9], -v[12:13]
	v_mul_f64 v[14:15], v[26:27], s[24:25]
	v_fma_f64 v[146:147], v[18:19], s[16:17], -v[146:147]
	v_fma_f64 v[150:151], v[157:158], s[16:17], -v[150:151]
	v_fma_f64 v[4:5], v[0:1], s[22:23], v[4:5]
	v_fma_f64 v[10:11], v[2:3], s[22:23], v[10:11]
	v_fma_f64 v[0:1], v[0:1], s[28:29], v[12:13]
	v_fma_f64 v[2:3], v[2:3], s[28:29], v[16:17]
	v_fma_f64 v[152:153], v[6:7], s[20:21], v[148:149]
	v_fma_f64 v[148:149], v[20:21], s[8:9], -v[16:17]
	v_mul_f64 v[20:21], v[30:31], s[24:25]
	v_fma_f64 v[18:19], v[18:19], s[26:27], -v[14:15]
	v_add_f64 v[161:162], v[146:147], v[28:29]
	v_add_f64 v[163:164], v[150:151], v[165:166]
	v_fma_f64 v[4:5], v[6:7], s[20:21], v[4:5]
	v_fma_f64 v[10:11], v[8:9], s[20:21], v[10:11]
	;; [unrolled: 1-line block ×5, first 2 shown]
	v_fma_f64 v[26:27], v[157:158], s[26:27], -v[20:21]
	v_add_f64 v[18:19], v[18:19], v[28:29]
	v_add_f64 v[8:9], v[136:137], -v[132:133]
	v_fma_f64 v[132:133], v[179:180], s[14:15], v[112:113]
	v_add_f64 v[148:149], v[152:153], v[163:164]
	v_add_f64 v[152:153], v[163:164], -v[152:153]
	v_add_f64 v[146:147], v[161:162], -v[159:160]
	v_add_f64 v[26:27], v[26:27], v[165:166]
	v_add_f64 v[150:151], v[159:160], v[161:162]
	;; [unrolled: 1-line block ×3, first 2 shown]
	v_add_f64 v[161:162], v[18:19], -v[10:11]
	v_fma_f64 v[10:11], v[24:25], s[2:3], v[20:21]
	v_add_f64 v[20:21], v[177:178], -v[175:176]
	v_add_f64 v[24:25], v[185:186], -v[183:184]
	;; [unrolled: 1-line block ×3, first 2 shown]
	v_add_f64 v[163:164], v[4:5], v[26:27]
	v_fma_f64 v[4:5], v[22:23], s[2:3], v[14:15]
	v_add_f64 v[22:23], v[175:176], -v[173:174]
	v_add_f64 v[6:7], v[10:11], v[165:166]
	v_add_f64 v[10:11], v[116:117], -v[124:125]
	v_add_f64 v[26:27], v[183:184], -v[181:182]
	v_mul_f64 v[30:31], v[24:25], s[2:3]
	v_add_f64 v[4:5], v[4:5], v[28:29]
	v_mul_f64 v[28:29], v[20:21], s[2:3]
	v_add_f64 v[167:168], v[6:7], -v[0:1]
	v_add_f64 v[171:172], v[0:1], v[6:7]
	v_add_f64 v[0:1], v[122:123], -v[130:131]
	v_add_f64 v[6:7], v[120:121], -v[128:129]
	v_fma_f64 v[30:31], v[26:27], s[16:17], -v[30:31]
	v_add_f64 v[165:166], v[2:3], v[4:5]
	v_add_f64 v[169:170], v[4:5], -v[2:3]
	v_add_f64 v[2:3], v[138:139], -v[134:135]
	;; [unrolled: 1-line block ×3, first 2 shown]
	v_fma_f64 v[28:29], v[22:23], s[16:17], -v[28:29]
	v_add_f64 v[16:17], v[8:9], -v[6:7]
	v_add_f64 v[18:19], v[6:7], -v[10:11]
	v_add_f64 v[6:7], v[8:9], v[6:7]
	v_fma_f64 v[134:135], v[187:188], s[14:15], v[114:115]
	v_add_f64 v[12:13], v[2:3], -v[0:1]
	v_add_f64 v[14:15], v[0:1], -v[4:5]
	v_add_f64 v[0:1], v[2:3], v[0:1]
	v_mul_f64 v[16:17], v[16:17], s[18:19]
	v_add_f64 v[28:29], v[28:29], v[132:133]
	v_add_f64 v[6:7], v[6:7], v[10:11]
	;; [unrolled: 1-line block ×3, first 2 shown]
	v_add_f64 v[2:3], v[4:5], -v[2:3]
	v_mul_f64 v[12:13], v[12:13], s[18:19]
	v_add_f64 v[0:1], v[0:1], v[4:5]
	v_add_f64 v[4:5], v[10:11], -v[8:9]
	v_mul_f64 v[8:9], v[14:15], s[12:13]
	v_mul_f64 v[10:11], v[18:19], s[12:13]
	v_fma_f64 v[116:117], v[14:15], s[8:9], -v[12:13]
	s_delay_alu instid0(VALU_DEP_3) | instskip(NEXT) | instid1(VALU_DEP_3)
	v_fma_f64 v[8:9], v[2:3], s[22:23], v[8:9]
	v_fma_f64 v[10:11], v[4:5], s[22:23], v[10:11]
	;; [unrolled: 1-line block ×5, first 2 shown]
	v_fma_f64 v[116:117], v[18:19], s[8:9], -v[16:17]
	v_fma_f64 v[8:9], v[0:1], s[20:21], v[8:9]
	v_fma_f64 v[10:11], v[6:7], s[20:21], v[10:11]
	;; [unrolled: 1-line block ×4, first 2 shown]
	v_add_f64 v[118:119], v[122:123], v[30:31]
	v_fma_f64 v[120:121], v[6:7], s[20:21], v[116:117]
	v_add_f64 v[122:123], v[30:31], -v[122:123]
	v_add_f64 v[30:31], v[181:182], -v[185:186]
	s_delay_alu instid0(VALU_DEP_3) | instskip(SKIP_2) | instid1(VALU_DEP_4)
	v_add_f64 v[116:117], v[28:29], -v[120:121]
	v_add_f64 v[120:121], v[120:121], v[28:29]
	v_add_f64 v[28:29], v[173:174], -v[177:178]
	v_mul_f64 v[18:19], v[30:31], s[24:25]
	s_delay_alu instid0(VALU_DEP_2) | instskip(NEXT) | instid1(VALU_DEP_2)
	v_mul_f64 v[14:15], v[28:29], s[24:25]
	v_fma_f64 v[26:27], v[26:27], s[26:27], -v[18:19]
	s_delay_alu instid0(VALU_DEP_2) | instskip(NEXT) | instid1(VALU_DEP_2)
	v_fma_f64 v[22:23], v[22:23], s[26:27], -v[14:15]
	v_add_f64 v[26:27], v[26:27], v[134:135]
	s_delay_alu instid0(VALU_DEP_2) | instskip(NEXT) | instid1(VALU_DEP_2)
	v_add_f64 v[22:23], v[22:23], v[132:133]
	v_add_f64 v[126:127], v[26:27], -v[8:9]
	v_add_f64 v[130:131], v[8:9], v[26:27]
	v_fma_f64 v[8:9], v[20:21], s[2:3], v[14:15]
	s_delay_alu instid0(VALU_DEP_4) | instskip(SKIP_2) | instid1(VALU_DEP_4)
	v_add_f64 v[124:125], v[10:11], v[22:23]
	v_add_f64 v[128:129], v[22:23], -v[10:11]
	v_fma_f64 v[10:11], v[24:25], s[2:3], v[18:19]
	v_add_f64 v[4:5], v[8:9], v[132:133]
	v_lshrrev_b16 v24, 2, v143
	s_delay_alu instid0(VALU_DEP_1) | instskip(NEXT) | instid1(VALU_DEP_1)
	v_and_b32_e32 v24, 63, v24
	v_mul_lo_u16 v24, v24, 37
	v_add_f64 v[6:7], v[10:11], v[134:135]
	v_add_f64 v[132:133], v[2:3], v[4:5]
	v_add_f64 v[136:137], v[4:5], -v[2:3]
	s_delay_alu instid0(VALU_DEP_3) | instskip(SKIP_2) | instid1(VALU_DEP_1)
	v_add_f64 v[134:135], v[6:7], -v[0:1]
	v_add_f64 v[138:139], v[0:1], v[6:7]
	v_lshrrev_b32_e32 v0, 2, v255
	v_mul_u32_u24_e32 v0, 28, v0
	s_delay_alu instid0(VALU_DEP_1) | instskip(NEXT) | instid1(VALU_DEP_1)
	v_or_b32_e32 v0, v0, v144
	v_lshl_add_u32 v205, v0, 4, v156
	v_lshrrev_b32_e32 v0, 2, v143
	ds_store_b128 v205, v[108:111]
	ds_store_b128 v205, v[165:168] offset:64
	ds_store_b128 v205, v[157:160] offset:128
	;; [unrolled: 1-line block ×6, first 2 shown]
	v_mul_u32_u24_e32 v0, 28, v0
	v_lshrrev_b16 v157, 8, v24
	s_delay_alu instid0(VALU_DEP_2) | instskip(NEXT) | instid1(VALU_DEP_2)
	v_or_b32_e32 v0, v0, v145
	v_mul_lo_u16 v24, v157, 28
	s_delay_alu instid0(VALU_DEP_2) | instskip(SKIP_1) | instid1(VALU_DEP_3)
	v_lshl_add_u32 v204, v0, 4, v156
	v_lshrrev_b16 v0, 2, v142
	v_sub_nc_u16 v24, v143, v24
	ds_store_b128 v204, v[112:115]
	ds_store_b128 v204, v[132:135] offset:64
	ds_store_b128 v204, v[124:127] offset:128
	;; [unrolled: 1-line block ×6, first 2 shown]
	v_and_b32_e32 v0, 63, v0
	s_waitcnt lgkmcnt(0)
	s_barrier
	buffer_gl0_inv
	ds_load_b128 v[112:115], v206 offset:3136
	ds_load_b128 v[116:119], v206 offset:9408
	v_and_b32_e32 v158, 0xff, v24
	v_mul_lo_u16 v0, v0, 37
	ds_load_b128 v[132:135], v206 offset:12544
	ds_load_b128 v[136:139], v206 offset:10976
	v_mad_u64_u32 v[24:25], null, 0x60, v158, s[10:11]
	v_lshrrev_b16 v168, 8, v0
	s_delay_alu instid0(VALU_DEP_1)
	v_mul_lo_u16 v0, v168, 28
	s_clause 0x2
	global_load_b128 v[148:151], v[24:25], off offset:432
	global_load_b128 v[160:163], v[24:25], off offset:480
	;; [unrolled: 1-line block ×3, first 2 shown]
	v_sub_nc_u16 v0, v142, v0
	global_load_b128 v[140:143], v[24:25], off offset:416
	v_and_b32_e32 v159, 0xff, v0
	s_delay_alu instid0(VALU_DEP_1)
	v_mad_u64_u32 v[0:1], null, 0x60, v159, s[10:11]
	s_clause 0x3
	global_load_b128 v[108:111], v[0:1], off offset:416
	global_load_b128 v[120:123], v[0:1], off offset:432
	;; [unrolled: 1-line block ×4, first 2 shown]
	s_waitcnt vmcnt(3) lgkmcnt(3)
	v_mul_f64 v[2:3], v[114:115], v[110:111]
	v_mul_f64 v[4:5], v[112:113], v[110:111]
	s_delay_alu instid0(VALU_DEP_2) | instskip(NEXT) | instid1(VALU_DEP_2)
	v_fma_f64 v[2:3], v[112:113], v[108:109], -v[2:3]
	v_fma_f64 v[4:5], v[114:115], v[108:109], v[4:5]
	ds_load_b128 v[112:115], v206 offset:6272
	s_waitcnt vmcnt(2) lgkmcnt(0)
	v_mul_f64 v[6:7], v[114:115], v[122:123]
	v_mul_f64 v[8:9], v[112:113], v[122:123]
	s_delay_alu instid0(VALU_DEP_2) | instskip(NEXT) | instid1(VALU_DEP_2)
	v_fma_f64 v[6:7], v[112:113], v[120:121], -v[6:7]
	v_fma_f64 v[8:9], v[114:115], v[120:121], v[8:9]
	ds_load_b128 v[112:115], v206 offset:18816
	;; [unrolled: 7-line block ×3, first 2 shown]
	s_waitcnt vmcnt(0) lgkmcnt(0)
	v_mul_f64 v[14:15], v[114:115], v[130:131]
	v_mul_f64 v[16:17], v[112:113], v[130:131]
	v_add_f64 v[177:178], v[2:3], v[10:11]
	v_add_f64 v[181:182], v[4:5], v[12:13]
	v_add_f64 v[2:3], v[2:3], -v[10:11]
	v_add_f64 v[4:5], v[4:5], -v[12:13]
	v_fma_f64 v[14:15], v[112:113], v[128:129], -v[14:15]
	v_fma_f64 v[16:17], v[114:115], v[128:129], v[16:17]
	global_load_b128 v[112:115], v[0:1], off offset:448
	v_add_f64 v[169:170], v[6:7], v[14:15]
	v_add_f64 v[173:174], v[8:9], v[16:17]
	v_add_f64 v[6:7], v[6:7], -v[14:15]
	v_add_f64 v[8:9], v[8:9], -v[16:17]
	s_delay_alu instid0(VALU_DEP_4) | instskip(NEXT) | instid1(VALU_DEP_4)
	v_add_f64 v[12:13], v[169:170], -v[177:178]
	v_add_f64 v[16:17], v[173:174], -v[181:182]
	s_waitcnt vmcnt(0)
	v_mul_f64 v[18:19], v[118:119], v[114:115]
	v_mul_f64 v[20:21], v[116:117], v[114:115]
	s_delay_alu instid0(VALU_DEP_2) | instskip(NEXT) | instid1(VALU_DEP_2)
	v_fma_f64 v[18:19], v[116:117], v[112:113], -v[18:19]
	v_fma_f64 v[20:21], v[118:119], v[112:113], v[20:21]
	global_load_b128 v[116:119], v[0:1], off offset:464
	s_waitcnt vmcnt(0)
	v_mul_f64 v[0:1], v[134:135], v[118:119]
	v_mul_f64 v[22:23], v[132:133], v[118:119]
	s_delay_alu instid0(VALU_DEP_2) | instskip(NEXT) | instid1(VALU_DEP_2)
	v_fma_f64 v[0:1], v[132:133], v[116:117], -v[0:1]
	v_fma_f64 v[22:23], v[134:135], v[116:117], v[22:23]
	ds_load_b128 v[132:135], v206 offset:4704
	s_waitcnt lgkmcnt(0)
	v_mul_f64 v[26:27], v[134:135], v[142:143]
	v_mul_f64 v[28:29], v[132:133], v[142:143]
	v_add_f64 v[179:180], v[18:19], v[0:1]
	v_add_f64 v[183:184], v[20:21], v[22:23]
	v_add_f64 v[0:1], v[0:1], -v[18:19]
	v_add_f64 v[10:11], v[22:23], -v[20:21]
	v_fma_f64 v[26:27], v[132:133], v[140:141], -v[26:27]
	v_fma_f64 v[28:29], v[134:135], v[140:141], v[28:29]
	ds_load_b128 v[132:135], v206 offset:7840
	v_add_f64 v[14:15], v[179:180], -v[169:170]
	v_add_f64 v[18:19], v[183:184], -v[173:174]
	;; [unrolled: 1-line block ×3, first 2 shown]
	v_add_f64 v[20:21], v[0:1], v[6:7]
	v_add_f64 v[6:7], v[6:7], -v[2:3]
	v_add_f64 v[0:1], v[2:3], -v[0:1]
	s_waitcnt lgkmcnt(0)
	v_mul_f64 v[30:31], v[134:135], v[150:151]
	v_mul_f64 v[22:23], v[22:23], s[18:19]
	v_add_f64 v[20:21], v[20:21], v[2:3]
	v_add_f64 v[2:3], v[4:5], -v[10:11]
	s_delay_alu instid0(VALU_DEP_4) | instskip(SKIP_2) | instid1(VALU_DEP_2)
	v_fma_f64 v[30:31], v[132:133], v[148:149], -v[30:31]
	v_mul_f64 v[132:133], v[132:133], v[150:151]
	v_fma_f64 v[189:190], v[6:7], s[8:9], -v[22:23]
	v_fma_f64 v[193:194], v[134:135], v[148:149], v[132:133]
	global_load_b128 v[132:135], v[24:25], off offset:448
	v_fma_f64 v[189:190], v[20:21], s[20:21], v[189:190]
	s_waitcnt vmcnt(0)
	v_mul_f64 v[144:145], v[138:139], v[134:135]
	s_delay_alu instid0(VALU_DEP_1) | instskip(SKIP_2) | instid1(VALU_DEP_1)
	v_fma_f64 v[195:196], v[136:137], v[132:133], -v[144:145]
	global_load_b128 v[144:147], v[24:25], off offset:464
	v_mul_f64 v[136:137], v[136:137], v[134:135]
	v_fma_f64 v[197:198], v[138:139], v[132:133], v[136:137]
	ds_load_b128 v[136:139], v206 offset:14112
	s_waitcnt vmcnt(0) lgkmcnt(0)
	v_mul_f64 v[152:153], v[138:139], v[146:147]
	s_delay_alu instid0(VALU_DEP_1) | instskip(SKIP_1) | instid1(VALU_DEP_2)
	v_fma_f64 v[199:200], v[136:137], v[144:145], -v[152:153]
	v_mul_f64 v[136:137], v[136:137], v[146:147]
	v_add_f64 v[231:232], v[195:196], v[199:200]
	s_delay_alu instid0(VALU_DEP_2) | instskip(SKIP_4) | instid1(VALU_DEP_2)
	v_fma_f64 v[201:202], v[138:139], v[144:145], v[136:137]
	ds_load_b128 v[136:139], v206 offset:17248
	s_waitcnt lgkmcnt(0)
	v_mul_f64 v[152:153], v[138:139], v[162:163]
	v_add_f64 v[239:240], v[197:198], v[201:202]
	v_fma_f64 v[209:210], v[136:137], v[160:161], -v[152:153]
	v_mul_f64 v[136:137], v[136:137], v[162:163]
	s_delay_alu instid0(VALU_DEP_2) | instskip(NEXT) | instid1(VALU_DEP_2)
	v_add_f64 v[229:230], v[30:31], v[209:210]
	v_fma_f64 v[211:212], v[138:139], v[160:161], v[136:137]
	ds_load_b128 v[136:139], v206 offset:20384
	s_waitcnt lgkmcnt(0)
	v_mul_f64 v[24:25], v[138:139], v[166:167]
	v_add_f64 v[237:238], v[193:194], v[211:212]
	s_delay_alu instid0(VALU_DEP_2) | instskip(SKIP_1) | instid1(VALU_DEP_2)
	v_fma_f64 v[24:25], v[136:137], v[164:165], -v[24:25]
	v_mul_f64 v[136:137], v[136:137], v[166:167]
	v_add_f64 v[227:228], v[26:27], v[24:25]
	s_delay_alu instid0(VALU_DEP_2)
	v_fma_f64 v[225:226], v[138:139], v[164:165], v[136:137]
	v_add_f64 v[136:137], v[169:170], v[177:178]
	v_add_f64 v[169:170], v[10:11], v[8:9]
	v_add_f64 v[177:178], v[177:178], -v[179:180]
	v_add_f64 v[152:153], v[229:230], v[227:228]
	v_add_f64 v[235:236], v[28:29], v[225:226]
	;; [unrolled: 1-line block ×4, first 2 shown]
	v_add_f64 v[173:174], v[10:11], -v[8:9]
	v_add_f64 v[8:9], v[8:9], -v[4:5]
	;; [unrolled: 1-line block ×3, first 2 shown]
	v_add_f64 v[185:186], v[169:170], v[4:5]
	v_mul_f64 v[169:170], v[14:15], s[2:3]
	v_mul_f64 v[4:5], v[6:7], s[12:13]
	v_add_f64 v[233:234], v[231:232], v[152:153]
	v_add_f64 v[152:153], v[237:238], v[235:236]
	;; [unrolled: 1-line block ×3, first 2 shown]
	ds_load_b128 v[136:139], v206
	v_mul_f64 v[187:188], v[173:174], s[18:19]
	v_mul_f64 v[173:174], v[18:19], s[2:3]
	;; [unrolled: 1-line block ×4, first 2 shown]
	v_fma_f64 v[169:170], v[12:13], s[16:17], -v[169:170]
	v_fma_f64 v[4:5], v[0:1], s[22:23], v[4:5]
	v_fma_f64 v[0:1], v[0:1], s[28:29], v[22:23]
	v_add_f64 v[241:242], v[239:240], v[152:153]
	ds_load_b128 v[152:155], v206 offset:1568
	s_waitcnt lgkmcnt(1)
	v_add_f64 v[136:137], v[136:137], v[171:172]
	v_add_f64 v[138:139], v[138:139], v[175:176]
	s_waitcnt lgkmcnt(0)
	v_fma_f64 v[173:174], v[16:17], s[16:17], -v[173:174]
	v_fma_f64 v[6:7], v[2:3], s[22:23], v[6:7]
	v_fma_f64 v[16:17], v[16:17], s[26:27], -v[10:11]
	v_fma_f64 v[2:3], v[2:3], s[28:29], v[187:188]
	v_fma_f64 v[4:5], v[20:21], s[20:21], v[4:5]
	;; [unrolled: 1-line block ×3, first 2 shown]
	s_barrier
	buffer_gl0_inv
	v_add_f64 v[152:153], v[152:153], v[233:234]
	v_add_f64 v[154:155], v[154:155], v[241:242]
	v_fma_f64 v[191:192], v[171:172], s[14:15], v[136:137]
	v_fma_f64 v[171:172], v[8:9], s[8:9], -v[187:188]
	v_mul_f64 v[8:9], v[177:178], s[24:25]
	v_fma_f64 v[243:244], v[175:176], s[14:15], v[138:139]
	v_fma_f64 v[6:7], v[185:186], s[20:21], v[6:7]
	v_fma_f64 v[2:3], v[185:186], s[20:21], v[2:3]
	v_add_f64 v[245:246], v[169:170], v[191:192]
	v_fma_f64 v[175:176], v[185:186], s[20:21], v[171:172]
	v_fma_f64 v[12:13], v[12:13], s[26:27], -v[8:9]
	v_add_f64 v[16:17], v[16:17], v[243:244]
	v_add_f64 v[247:248], v[173:174], v[243:244]
	s_delay_alu instid0(VALU_DEP_4) | instskip(NEXT) | instid1(VALU_DEP_4)
	v_add_f64 v[169:170], v[245:246], -v[175:176]
	v_add_f64 v[12:13], v[12:13], v[191:192]
	s_delay_alu instid0(VALU_DEP_4)
	v_add_f64 v[179:180], v[16:17], -v[4:5]
	v_add_f64 v[183:184], v[4:5], v[16:17]
	v_fma_f64 v[4:5], v[14:15], s[2:3], v[8:9]
	v_add_f64 v[171:172], v[189:190], v[247:248]
	v_add_f64 v[173:174], v[175:176], v[245:246]
	v_add_f64 v[175:176], v[247:248], -v[189:190]
	v_add_f64 v[8:9], v[201:202], -v[197:198]
	v_add_f64 v[14:15], v[231:232], -v[229:230]
	v_add_f64 v[16:17], v[237:238], -v[235:236]
	v_fma_f64 v[201:202], v[233:234], s[14:15], v[152:153]
	v_add_f64 v[177:178], v[6:7], v[12:13]
	v_add_f64 v[181:182], v[12:13], -v[6:7]
	v_fma_f64 v[6:7], v[18:19], s[2:3], v[10:11]
	v_add_f64 v[4:5], v[4:5], v[191:192]
	v_add_f64 v[10:11], v[28:29], -v[225:226]
	v_add_f64 v[18:19], v[239:240], -v[237:238]
	;; [unrolled: 1-line block ×3, first 2 shown]
	v_mul_f64 v[28:29], v[14:15], s[2:3]
	v_add_f64 v[6:7], v[6:7], v[243:244]
	v_add_f64 v[185:186], v[2:3], v[4:5]
	v_add_f64 v[189:190], v[4:5], -v[2:3]
	v_add_f64 v[2:3], v[199:200], -v[195:196]
	;; [unrolled: 1-line block ×3, first 2 shown]
	v_fma_f64 v[28:29], v[12:13], s[16:17], -v[28:29]
	v_add_f64 v[187:188], v[6:7], -v[0:1]
	v_add_f64 v[191:192], v[0:1], v[6:7]
	v_add_f64 v[0:1], v[30:31], -v[209:210]
	v_add_f64 v[6:7], v[193:194], -v[211:212]
	v_mul_f64 v[30:31], v[18:19], s[2:3]
	v_fma_f64 v[209:210], v[241:242], s[14:15], v[154:155]
	v_add_f64 v[28:29], v[28:29], v[201:202]
	v_add_f64 v[22:23], v[2:3], -v[0:1]
	v_add_f64 v[20:21], v[2:3], v[0:1]
	v_add_f64 v[0:1], v[0:1], -v[4:5]
	v_add_f64 v[26:27], v[8:9], -v[6:7]
	v_add_f64 v[24:25], v[8:9], v[6:7]
	v_add_f64 v[6:7], v[6:7], -v[10:11]
	v_fma_f64 v[30:31], v[16:17], s[16:17], -v[30:31]
	v_add_f64 v[2:3], v[4:5], -v[2:3]
	v_mul_f64 v[22:23], v[22:23], s[18:19]
	v_add_f64 v[20:21], v[20:21], v[4:5]
	v_add_f64 v[4:5], v[10:11], -v[8:9]
	v_mul_f64 v[26:27], v[26:27], s[18:19]
	v_add_f64 v[24:25], v[24:25], v[10:11]
	v_add_f64 v[30:31], v[30:31], v[209:210]
	v_fma_f64 v[193:194], v[0:1], s[8:9], -v[22:23]
	v_mul_f64 v[0:1], v[0:1], s[12:13]
	s_delay_alu instid0(VALU_DEP_2) | instskip(SKIP_2) | instid1(VALU_DEP_4)
	v_fma_f64 v[199:200], v[20:21], s[20:21], v[193:194]
	v_fma_f64 v[193:194], v[6:7], s[8:9], -v[26:27]
	v_mul_f64 v[6:7], v[6:7], s[12:13]
	v_fma_f64 v[0:1], v[2:3], s[22:23], v[0:1]
	s_delay_alu instid0(VALU_DEP_4) | instskip(NEXT) | instid1(VALU_DEP_4)
	v_add_f64 v[195:196], v[199:200], v[30:31]
	v_fma_f64 v[197:198], v[24:25], s[20:21], v[193:194]
	v_add_f64 v[199:200], v[30:31], -v[199:200]
	v_add_f64 v[30:31], v[235:236], -v[239:240]
	v_fma_f64 v[6:7], v[4:5], s[22:23], v[6:7]
	v_fma_f64 v[0:1], v[20:21], s[20:21], v[0:1]
	v_add_f64 v[193:194], v[28:29], -v[197:198]
	v_add_f64 v[197:198], v[197:198], v[28:29]
	v_add_f64 v[28:29], v[227:228], -v[231:232]
	v_mul_f64 v[10:11], v[30:31], s[24:25]
	v_fma_f64 v[6:7], v[24:25], s[20:21], v[6:7]
	s_delay_alu instid0(VALU_DEP_3) | instskip(NEXT) | instid1(VALU_DEP_3)
	v_mul_f64 v[8:9], v[28:29], s[24:25]
	v_fma_f64 v[16:17], v[16:17], s[26:27], -v[10:11]
	s_delay_alu instid0(VALU_DEP_2) | instskip(NEXT) | instid1(VALU_DEP_2)
	v_fma_f64 v[12:13], v[12:13], s[26:27], -v[8:9]
	v_add_f64 v[16:17], v[16:17], v[209:210]
	s_delay_alu instid0(VALU_DEP_2) | instskip(NEXT) | instid1(VALU_DEP_2)
	v_add_f64 v[12:13], v[12:13], v[201:202]
	v_add_f64 v[229:230], v[16:17], -v[0:1]
	v_add_f64 v[233:234], v[0:1], v[16:17]
	v_fma_f64 v[0:1], v[2:3], s[28:29], v[22:23]
	v_fma_f64 v[2:3], v[4:5], s[28:29], v[26:27]
	;; [unrolled: 1-line block ×3, first 2 shown]
	v_add_f64 v[227:228], v[6:7], v[12:13]
	v_add_f64 v[231:232], v[12:13], -v[6:7]
	v_fma_f64 v[6:7], v[18:19], s[2:3], v[10:11]
	v_fma_f64 v[0:1], v[20:21], s[20:21], v[0:1]
	;; [unrolled: 1-line block ×3, first 2 shown]
	v_add_f64 v[4:5], v[4:5], v[201:202]
	s_delay_alu instid0(VALU_DEP_4) | instskip(NEXT) | instid1(VALU_DEP_2)
	v_add_f64 v[6:7], v[6:7], v[209:210]
	v_add_f64 v[235:236], v[2:3], v[4:5]
	v_add_f64 v[239:240], v[4:5], -v[2:3]
	s_delay_alu instid0(VALU_DEP_3) | instskip(SKIP_2) | instid1(VALU_DEP_1)
	v_add_f64 v[237:238], v[6:7], -v[0:1]
	v_add_f64 v[241:242], v[0:1], v[6:7]
	v_and_b32_e32 v0, 0xffff, v168
	v_mul_u32_u24_e32 v0, 0xc4, v0
	s_delay_alu instid0(VALU_DEP_1) | instskip(NEXT) | instid1(VALU_DEP_1)
	v_add_nc_u32_e32 v0, v0, v159
	v_lshl_add_u32 v226, v0, 4, v156
	v_and_b32_e32 v0, 0xffff, v157
	ds_store_b128 v226, v[136:139]
	ds_store_b128 v226, v[185:188] offset:448
	ds_store_b128 v226, v[177:180] offset:896
	;; [unrolled: 1-line block ×6, first 2 shown]
	v_mul_u32_u24_e32 v0, 0xc4, v0
	s_delay_alu instid0(VALU_DEP_1) | instskip(NEXT) | instid1(VALU_DEP_1)
	v_add_nc_u32_e32 v0, v0, v158
	v_lshl_add_u32 v225, v0, 4, v156
	v_mad_u64_u32 v[0:1], null, 0x60, v255, s[10:11]
	ds_store_b128 v225, v[152:155]
	ds_store_b128 v225, v[235:238] offset:448
	ds_store_b128 v225, v[227:230] offset:896
	;; [unrolled: 1-line block ×6, first 2 shown]
	s_waitcnt lgkmcnt(0)
	s_barrier
	buffer_gl0_inv
	ds_load_b128 v[152:155], v206 offset:3136
	ds_load_b128 v[156:159], v206 offset:9408
	;; [unrolled: 1-line block ×4, first 2 shown]
	s_clause 0x1
	global_load_b128 v[136:139], v[0:1], off offset:3104
	global_load_b128 v[168:171], v[0:1], off offset:3120
	ds_load_b128 v[172:175], v206 offset:12544
	ds_load_b128 v[184:187], v206 offset:10976
	;; [unrolled: 1-line block ×3, first 2 shown]
	s_waitcnt vmcnt(1) lgkmcnt(6)
	v_mul_f64 v[2:3], v[154:155], v[138:139]
	v_mul_f64 v[4:5], v[152:153], v[138:139]
	s_delay_alu instid0(VALU_DEP_2) | instskip(NEXT) | instid1(VALU_DEP_2)
	v_fma_f64 v[211:212], v[152:153], v[136:137], -v[2:3]
	v_fma_f64 v[209:210], v[154:155], v[136:137], v[4:5]
	ds_load_b128 v[152:155], v206 offset:6272
	s_waitcnt vmcnt(0) lgkmcnt(0)
	v_mul_f64 v[6:7], v[154:155], v[170:171]
	v_mul_f64 v[8:9], v[152:153], v[170:171]
	s_delay_alu instid0(VALU_DEP_2) | instskip(NEXT) | instid1(VALU_DEP_2)
	v_fma_f64 v[237:238], v[152:153], v[168:169], -v[6:7]
	v_fma_f64 v[235:236], v[154:155], v[168:169], v[8:9]
	global_load_b128 v[152:155], v[0:1], off offset:3136
	s_waitcnt vmcnt(0)
	v_mul_f64 v[10:11], v[158:159], v[154:155]
	v_mul_f64 v[12:13], v[156:157], v[154:155]
	s_delay_alu instid0(VALU_DEP_2) | instskip(NEXT) | instid1(VALU_DEP_2)
	v_fma_f64 v[241:242], v[156:157], v[152:153], -v[10:11]
	v_fma_f64 v[239:240], v[158:159], v[152:153], v[12:13]
	global_load_b128 v[156:159], v[0:1], off offset:3152
	s_waitcnt vmcnt(0)
	v_mul_f64 v[14:15], v[174:175], v[158:159]
	v_mul_f64 v[16:17], v[172:173], v[158:159]
	s_delay_alu instid0(VALU_DEP_2) | instskip(NEXT) | instid1(VALU_DEP_2)
	v_fma_f64 v[245:246], v[172:173], v[156:157], -v[14:15]
	v_fma_f64 v[243:244], v[174:175], v[156:157], v[16:17]
	global_load_b128 v[172:175], v[0:1], off offset:3168
	v_add_f64 v[251:252], v[241:242], v[245:246]
	v_add_f64 v[8:9], v[239:240], v[243:244]
	v_add_f64 v[245:246], v[245:246], -v[241:242]
	s_waitcnt vmcnt(0)
	v_mul_f64 v[18:19], v[178:179], v[174:175]
	v_mul_f64 v[20:21], v[176:177], v[174:175]
	s_delay_alu instid0(VALU_DEP_2) | instskip(NEXT) | instid1(VALU_DEP_2)
	v_fma_f64 v[32:33], v[176:177], v[172:173], -v[18:19]
	v_fma_f64 v[36:37], v[178:179], v[172:173], v[20:21]
	global_load_b128 v[176:179], v[0:1], off offset:3184
	v_add_co_u32 v0, vcc_lo, 0x24c0, v0
	v_add_co_ci_u32_e32 v1, vcc_lo, 0, v1, vcc_lo
	s_clause 0x1
	global_load_b128 v[188:191], v[0:1], off offset:3104
	global_load_b128 v[192:195], v[0:1], off offset:3120
	v_add_f64 v[249:250], v[237:238], v[32:33]
	v_add_f64 v[34:35], v[235:236], v[36:37]
	v_add_f64 v[32:33], v[237:238], -v[32:33]
	v_add_f64 v[36:37], v[235:236], -v[36:37]
	s_delay_alu instid0(VALU_DEP_2) | instskip(SKIP_1) | instid1(VALU_DEP_1)
	v_add_f64 v[235:236], v[245:246], v[32:33]
	v_add_f64 v[237:238], v[245:246], -v[32:33]
	v_mul_f64 v[6:7], v[237:238], s[18:19]
	s_waitcnt vmcnt(2)
	v_mul_f64 v[22:23], v[182:183], v[178:179]
	v_mul_f64 v[24:25], v[180:181], v[178:179]
	s_delay_alu instid0(VALU_DEP_2) | instskip(NEXT) | instid1(VALU_DEP_2)
	v_fma_f64 v[22:23], v[180:181], v[176:177], -v[22:23]
	v_fma_f64 v[24:25], v[182:183], v[176:177], v[24:25]
	ds_load_b128 v[180:183], v206 offset:4704
	s_waitcnt vmcnt(1) lgkmcnt(0)
	v_mul_f64 v[26:27], v[182:183], v[190:191]
	v_mul_f64 v[28:29], v[180:181], v[190:191]
	v_add_f64 v[247:248], v[211:212], v[22:23]
	v_add_f64 v[12:13], v[209:210], v[24:25]
	v_add_f64 v[22:23], v[211:212], -v[22:23]
	v_add_f64 v[211:212], v[243:244], -v[239:240]
	;; [unrolled: 1-line block ×3, first 2 shown]
	v_fma_f64 v[68:69], v[180:181], v[188:189], -v[26:27]
	v_fma_f64 v[70:71], v[182:183], v[188:189], v[28:29]
	ds_load_b128 v[180:183], v206 offset:7840
	v_add_f64 v[209:210], v[249:250], -v[247:248]
	v_add_f64 v[38:39], v[34:35], v[12:13]
	v_add_f64 v[243:244], v[34:35], -v[12:13]
	v_add_f64 v[34:35], v[8:9], -v[34:35]
	v_add_f64 v[241:242], v[211:212], -v[36:37]
	v_add_f64 v[32:33], v[32:33], -v[22:23]
	s_waitcnt vmcnt(0) lgkmcnt(0)
	v_mul_f64 v[30:31], v[182:183], v[194:195]
	v_add_f64 v[239:240], v[211:212], v[36:37]
	v_add_f64 v[36:37], v[36:37], -v[24:25]
	v_add_f64 v[4:5], v[235:236], v[22:23]
	v_add_f64 v[38:39], v[8:9], v[38:39]
	v_add_f64 v[8:9], v[12:13], -v[8:9]
	v_mul_f64 v[237:238], v[34:35], s[2:3]
	v_mul_f64 v[66:67], v[241:242], s[18:19]
	v_add_f64 v[12:13], v[22:23], -v[245:246]
	v_fma_f64 v[60:61], v[180:181], v[192:193], -v[30:31]
	v_mul_f64 v[180:181], v[180:181], v[194:195]
	v_add_f64 v[62:63], v[239:240], v[24:25]
	v_add_f64 v[22:23], v[24:25], -v[211:212]
	v_mul_f64 v[24:25], v[32:33], s[12:13]
	v_mul_f64 v[8:9], v[8:9], s[24:25]
	v_fma_f64 v[237:238], v[243:244], s[16:17], -v[237:238]
	v_fma_f64 v[239:240], v[36:37], s[8:9], -v[66:67]
	v_fma_f64 v[64:65], v[182:183], v[192:193], v[180:181]
	global_load_b128 v[180:183], v[0:1], off offset:3136
	v_fma_f64 v[24:25], v[12:13], s[22:23], v[24:25]
	v_fma_f64 v[239:240], v[62:63], s[20:21], v[239:240]
	s_delay_alu instid0(VALU_DEP_2) | instskip(SKIP_2) | instid1(VALU_DEP_1)
	v_fma_f64 v[24:25], v[4:5], s[20:21], v[24:25]
	s_waitcnt vmcnt(0)
	v_mul_f64 v[196:197], v[186:187], v[182:183]
	v_fma_f64 v[48:49], v[184:185], v[180:181], -v[196:197]
	v_mul_f64 v[184:185], v[184:185], v[182:183]
	ds_load_b128 v[196:199], v206 offset:14112
	v_fma_f64 v[52:53], v[186:187], v[180:181], v[184:185]
	global_load_b128 v[184:187], v[0:1], off offset:3152
	s_waitcnt vmcnt(0) lgkmcnt(0)
	v_mul_f64 v[200:201], v[198:199], v[186:187]
	s_delay_alu instid0(VALU_DEP_1)
	v_fma_f64 v[40:41], v[196:197], v[184:185], -v[200:201]
	v_mul_f64 v[196:197], v[196:197], v[186:187]
	ds_load_b128 v[200:203], v206 offset:17248
	v_add_f64 v[18:19], v[48:49], v[40:41]
	v_fma_f64 v[44:45], v[198:199], v[184:185], v[196:197]
	global_load_b128 v[196:199], v[0:1], off offset:3168
	v_add_f64 v[10:11], v[52:53], v[44:45]
	s_waitcnt vmcnt(0) lgkmcnt(0)
	v_mul_f64 v[227:228], v[202:203], v[198:199]
	s_delay_alu instid0(VALU_DEP_1)
	v_fma_f64 v[28:29], v[200:201], v[196:197], -v[227:228]
	v_mul_f64 v[200:201], v[200:201], v[198:199]
	ds_load_b128 v[227:230], v206 offset:20384
	v_add_f64 v[42:43], v[60:61], v[28:29]
	v_fma_f64 v[30:31], v[202:203], v[196:197], v[200:201]
	global_load_b128 v[200:203], v[0:1], off offset:3184
	v_add_f64 v[50:51], v[64:65], v[30:31]
	s_waitcnt vmcnt(0) lgkmcnt(0)
	v_mul_f64 v[0:1], v[229:230], v[202:203]
	s_delay_alu instid0(VALU_DEP_1) | instskip(SKIP_1) | instid1(VALU_DEP_2)
	v_fma_f64 v[14:15], v[227:228], v[200:201], -v[0:1]
	v_mul_f64 v[227:228], v[227:228], v[202:203]
	v_add_f64 v[26:27], v[68:69], v[14:15]
	s_delay_alu instid0(VALU_DEP_2) | instskip(SKIP_2) | instid1(VALU_DEP_4)
	v_fma_f64 v[20:21], v[229:230], v[200:201], v[227:228]
	v_add_f64 v[227:228], v[249:250], v[247:248]
	v_add_f64 v[249:250], v[251:252], -v[249:250]
	v_add_f64 v[46:47], v[42:43], v[26:27]
	s_delay_alu instid0(VALU_DEP_4) | instskip(NEXT) | instid1(VALU_DEP_4)
	v_add_f64 v[16:17], v[70:71], v[20:21]
	v_add_f64 v[253:254], v[251:252], v[227:228]
	ds_load_b128 v[227:230], v206
	v_mul_f64 v[235:236], v[249:250], s[2:3]
	s_waitcnt lgkmcnt(0)
	v_add_f64 v[229:230], v[229:230], v[38:39]
	v_add_f64 v[46:47], v[18:19], v[46:47]
	;; [unrolled: 1-line block ×4, first 2 shown]
	v_fma_f64 v[235:236], v[209:210], s[16:17], -v[235:236]
	v_fma_f64 v[2:3], v[38:39], s[14:15], v[229:230]
	v_fma_f64 v[38:39], v[32:33], s[8:9], -v[6:7]
	v_mul_f64 v[32:33], v[36:37], s[12:13]
	v_fma_f64 v[6:7], v[12:13], s[28:29], v[6:7]
	v_fma_f64 v[12:13], v[22:23], s[28:29], v[66:67]
	v_add_f64 v[231:232], v[231:232], v[46:47]
	v_add_f64 v[54:55], v[10:11], v[54:55]
	v_fma_f64 v[253:254], v[253:254], s[14:15], v[227:228]
	v_add_f64 v[0:1], v[237:238], v[2:3]
	v_fma_f64 v[38:39], v[4:5], s[20:21], v[38:39]
	v_fma_f64 v[32:33], v[22:23], s[22:23], v[32:33]
	;; [unrolled: 1-line block ×5, first 2 shown]
	v_add_f64 v[233:234], v[233:234], v[54:55]
	v_add_f64 v[241:242], v[235:236], v[253:254]
	;; [unrolled: 1-line block ×3, first 2 shown]
	v_fma_f64 v[32:33], v[62:63], s[20:21], v[32:33]
	s_delay_alu instid0(VALU_DEP_3)
	v_add_f64 v[235:236], v[241:242], -v[239:240]
	v_add_f64 v[239:240], v[239:240], v[241:242]
	v_add_f64 v[241:242], v[0:1], -v[38:39]
	v_add_f64 v[0:1], v[247:248], -v[251:252]
	v_fma_f64 v[38:39], v[243:244], s[26:27], -v[8:9]
	v_fma_f64 v[8:9], v[34:35], s[2:3], v[8:9]
	v_add_f64 v[34:35], v[10:11], -v[50:51]
	v_add_f64 v[10:11], v[16:17], -v[10:11]
	v_mul_f64 v[0:1], v[0:1], s[24:25]
	v_add_f64 v[38:39], v[38:39], v[2:3]
	v_add_f64 v[2:3], v[8:9], v[2:3]
	v_add_f64 v[8:9], v[44:45], -v[52:53]
	v_mul_f64 v[10:11], v[10:11], s[24:25]
	v_fma_f64 v[36:37], v[209:210], s[26:27], -v[0:1]
	v_fma_f64 v[0:1], v[249:250], s[2:3], v[0:1]
	v_add_f64 v[211:212], v[4:5], v[2:3]
	v_add_f64 v[245:246], v[38:39], -v[24:25]
	v_add_f64 v[38:39], v[24:25], v[38:39]
	v_add_f64 v[24:25], v[70:71], -v[20:21]
	v_add_f64 v[36:37], v[36:37], v[253:254]
	v_add_f64 v[0:1], v[0:1], v[253:254]
	v_add_f64 v[253:254], v[2:3], -v[4:5]
	v_add_f64 v[2:3], v[40:41], -v[48:49]
	;; [unrolled: 1-line block ×3, first 2 shown]
	v_add_f64 v[243:244], v[32:33], v[36:37]
	v_add_f64 v[251:252], v[6:7], v[0:1]
	v_add_f64 v[209:210], v[0:1], -v[6:7]
	v_add_f64 v[0:1], v[60:61], -v[28:29]
	;; [unrolled: 1-line block ×8, first 2 shown]
	v_fma_f64 v[50:51], v[54:55], s[14:15], v[233:234]
	v_add_f64 v[14:15], v[2:3], -v[0:1]
	v_add_f64 v[12:13], v[2:3], v[0:1]
	v_add_f64 v[0:1], v[0:1], -v[4:5]
	v_add_f64 v[20:21], v[8:9], v[6:7]
	v_add_f64 v[22:23], v[8:9], -v[6:7]
	v_add_f64 v[6:7], v[6:7], -v[24:25]
	;; [unrolled: 1-line block ×4, first 2 shown]
	v_fma_f64 v[16:17], v[32:33], s[26:27], -v[10:11]
	v_fma_f64 v[10:11], v[34:35], s[2:3], v[10:11]
	v_mul_f64 v[44:45], v[14:15], s[18:19]
	v_add_f64 v[40:41], v[12:13], v[4:5]
	v_mul_f64 v[12:13], v[30:31], s[2:3]
	v_add_f64 v[42:43], v[20:21], v[24:25]
	v_mul_f64 v[48:49], v[22:23], s[18:19]
	v_mul_f64 v[4:5], v[6:7], s[12:13]
	;; [unrolled: 1-line block ×4, first 2 shown]
	s_mov_b32 s19, 0x3fe11646
	v_add_f64 v[10:11], v[10:11], v[50:51]
	v_fma_f64 v[20:21], v[0:1], s[8:9], -v[44:45]
	v_mul_f64 v[0:1], v[0:1], s[12:13]
	v_fma_f64 v[12:13], v[28:29], s[16:17], -v[12:13]
	v_fma_f64 v[4:5], v[8:9], s[22:23], v[4:5]
	v_fma_f64 v[14:15], v[32:33], s[16:17], -v[14:15]
	v_fma_f64 v[22:23], v[40:41], s[20:21], v[20:21]
	;; [unrolled: 2-line block ×3, first 2 shown]
	v_fma_f64 v[6:7], v[28:29], s[26:27], -v[24:25]
	v_add_f64 v[28:29], v[16:17], v[50:51]
	v_fma_f64 v[18:19], v[42:43], s[20:21], v[4:5]
	v_add_f64 v[52:53], v[12:13], v[46:47]
	v_add_f64 v[54:55], v[14:15], v[50:51]
	v_fma_f64 v[20:21], v[42:43], s[20:21], v[20:21]
	v_fma_f64 v[0:1], v[40:41], s[20:21], v[0:1]
	v_add_f64 v[26:27], v[6:7], v[46:47]
	s_delay_alu instid0(VALU_DEP_4)
	v_add_f64 v[14:15], v[22:23], v[54:55]
	v_add_f64 v[22:23], v[54:55], -v[22:23]
	v_add_f64 v[12:13], v[52:53], -v[20:21]
	;; [unrolled: 1-line block ×3, first 2 shown]
	v_add_f64 v[4:5], v[18:19], v[26:27]
	v_add_f64 v[16:17], v[26:27], -v[18:19]
	v_add_f64 v[18:19], v[0:1], v[28:29]
	v_fma_f64 v[0:1], v[2:3], s[28:29], v[44:45]
	v_fma_f64 v[2:3], v[8:9], s[28:29], v[48:49]
	;; [unrolled: 1-line block ×3, first 2 shown]
	v_add_f64 v[20:21], v[20:21], v[52:53]
	s_delay_alu instid0(VALU_DEP_4) | instskip(NEXT) | instid1(VALU_DEP_4)
	v_fma_f64 v[24:25], v[40:41], s[20:21], v[0:1]
	v_fma_f64 v[26:27], v[42:43], s[20:21], v[2:3]
	s_delay_alu instid0(VALU_DEP_4) | instskip(SKIP_1) | instid1(VALU_DEP_3)
	v_add_f64 v[8:9], v[8:9], v[46:47]
	s_mov_b32 s21, 0xbfdc38aa
	v_add_f64 v[2:3], v[10:11], -v[24:25]
	v_add_f64 v[10:11], v[24:25], v[10:11]
	s_delay_alu instid0(VALU_DEP_3)
	v_add_f64 v[0:1], v[26:27], v[8:9]
	v_add_f64 v[8:9], v[8:9], -v[26:27]
	ds_store_b128 v206, v[227:230]
	ds_store_b128 v206, v[231:234] offset:1568
	ds_store_b128 v206, v[239:242] offset:12544
	;; [unrolled: 1-line block ×13, first 2 shown]
	v_add_co_u32 v0, vcc_lo, 0x5000, v207
	s_waitcnt lgkmcnt(0)
	s_barrier
	buffer_gl0_inv
	ds_load_b128 v[4:7], v206
	ds_load_b128 v[16:19], v206 offset:1568
	ds_load_b128 v[10:13], v206 offset:10976
	;; [unrolled: 1-line block ×10, first 2 shown]
	v_add_co_ci_u32_e32 v1, vcc_lo, 0, v208, vcc_lo
	global_load_b128 v[0:3], v[0:1], off offset:1472
	s_waitcnt vmcnt(0) lgkmcnt(10)
	v_mul_f64 v[8:9], v[6:7], v[2:3]
	v_mul_f64 v[2:3], v[4:5], v[2:3]
	s_delay_alu instid0(VALU_DEP_2) | instskip(NEXT) | instid1(VALU_DEP_2)
	v_fma_f64 v[28:29], v[4:5], v[0:1], -v[8:9]
	v_fma_f64 v[30:31], v[6:7], v[0:1], v[2:3]
	v_add_co_u32 v0, vcc_lo, 0x8000, v207
	v_add_co_ci_u32_e32 v1, vcc_lo, 0, v208, vcc_lo
	global_load_b128 v[6:9], v[0:1], off offset:160
	s_waitcnt vmcnt(0) lgkmcnt(8)
	v_mul_f64 v[2:3], v[12:13], v[8:9]
	v_mul_f64 v[4:5], v[10:11], v[8:9]
	s_delay_alu instid0(VALU_DEP_2) | instskip(SKIP_1) | instid1(VALU_DEP_3)
	v_fma_f64 v[24:25], v[10:11], v[6:7], -v[2:3]
	v_add_co_u32 v2, vcc_lo, 0x55c0, v207
	v_fma_f64 v[26:27], v[12:13], v[6:7], v[4:5]
	v_add_co_ci_u32_e32 v3, vcc_lo, 0, v208, vcc_lo
	global_load_b128 v[12:15], v[2:3], off offset:1568
	s_waitcnt vmcnt(0)
	v_mul_f64 v[4:5], v[18:19], v[14:15]
	v_mul_f64 v[6:7], v[16:17], v[14:15]
	s_delay_alu instid0(VALU_DEP_2) | instskip(NEXT) | instid1(VALU_DEP_2)
	v_fma_f64 v[14:15], v[16:17], v[12:13], -v[4:5]
	v_fma_f64 v[16:17], v[18:19], v[12:13], v[6:7]
	global_load_b128 v[18:21], v[0:1], off offset:1728
	s_waitcnt vmcnt(0) lgkmcnt(7)
	v_mul_f64 v[4:5], v[211:212], v[20:21]
	v_mul_f64 v[6:7], v[209:210], v[20:21]
	s_delay_alu instid0(VALU_DEP_2) | instskip(NEXT) | instid1(VALU_DEP_2)
	v_fma_f64 v[20:21], v[209:210], v[18:19], -v[4:5]
	v_fma_f64 v[22:23], v[211:212], v[18:19], v[6:7]
	global_load_b128 v[209:212], v[2:3], off offset:3136
	s_waitcnt vmcnt(0) lgkmcnt(6)
	;; [unrolled: 7-line block ×3, first 2 shown]
	v_mul_f64 v[0:1], v[233:234], v[211:212]
	v_mul_f64 v[2:3], v[231:232], v[211:212]
	s_delay_alu instid0(VALU_DEP_2) | instskip(SKIP_1) | instid1(VALU_DEP_3)
	v_fma_f64 v[231:232], v[231:232], v[209:210], -v[0:1]
	v_add_co_u32 v0, vcc_lo, 0x6000, v207
	v_fma_f64 v[233:234], v[233:234], v[209:210], v[2:3]
	v_add_co_ci_u32_e32 v1, vcc_lo, 0, v208, vcc_lo
	global_load_b128 v[209:212], v[0:1], off offset:2080
	s_waitcnt vmcnt(0)
	v_mul_f64 v[2:3], v[237:238], v[211:212]
	v_mul_f64 v[4:5], v[235:236], v[211:212]
	s_delay_alu instid0(VALU_DEP_2) | instskip(SKIP_1) | instid1(VALU_DEP_3)
	v_fma_f64 v[235:236], v[235:236], v[209:210], -v[2:3]
	v_add_co_u32 v2, vcc_lo, 0x9000, v207
	v_fma_f64 v[237:238], v[237:238], v[209:210], v[4:5]
	v_add_co_ci_u32_e32 v3, vcc_lo, 0, v208, vcc_lo
	global_load_b128 v[209:212], v[2:3], off offset:768
	s_waitcnt vmcnt(0) lgkmcnt(3)
	v_mul_f64 v[4:5], v[241:242], v[211:212]
	v_mul_f64 v[6:7], v[239:240], v[211:212]
	s_delay_alu instid0(VALU_DEP_2) | instskip(NEXT) | instid1(VALU_DEP_2)
	v_fma_f64 v[239:240], v[239:240], v[209:210], -v[4:5]
	v_fma_f64 v[241:242], v[241:242], v[209:210], v[6:7]
	global_load_b128 v[209:212], v[0:1], off offset:3648
	s_waitcnt vmcnt(0) lgkmcnt(2)
	v_mul_f64 v[0:1], v[245:246], v[211:212]
	v_mul_f64 v[4:5], v[243:244], v[211:212]
	s_delay_alu instid0(VALU_DEP_2) | instskip(NEXT) | instid1(VALU_DEP_2)
	v_fma_f64 v[243:244], v[243:244], v[209:210], -v[0:1]
	v_fma_f64 v[245:246], v[245:246], v[209:210], v[4:5]
	global_load_b128 v[209:212], v[2:3], off offset:2336
	s_waitcnt vmcnt(0) lgkmcnt(0)
	v_mul_f64 v[4:5], v[247:248], v[211:212]
	v_mul_f64 v[0:1], v[249:250], v[211:212]
	s_delay_alu instid0(VALU_DEP_2) | instskip(SKIP_1) | instid1(VALU_DEP_3)
	v_fma_f64 v[249:250], v[249:250], v[209:210], v[4:5]
	v_add_co_u32 v4, vcc_lo, 0x7000, v207
	v_fma_f64 v[247:248], v[247:248], v[209:210], -v[0:1]
	v_add_co_ci_u32_e32 v5, vcc_lo, 0, v208, vcc_lo
	global_load_b128 v[209:212], v[4:5], off offset:1120
	s_waitcnt vmcnt(0)
	v_mul_f64 v[0:1], v[253:254], v[211:212]
	v_mul_f64 v[6:7], v[251:252], v[211:212]
	s_delay_alu instid0(VALU_DEP_2) | instskip(NEXT) | instid1(VALU_DEP_2)
	v_fma_f64 v[251:252], v[251:252], v[209:210], -v[0:1]
	v_fma_f64 v[253:254], v[253:254], v[209:210], v[6:7]
	global_load_b128 v[209:212], v[2:3], off offset:3904
	ds_load_b128 v[0:3], v206 offset:18816
	s_waitcnt vmcnt(0) lgkmcnt(0)
	v_mul_f64 v[6:7], v[2:3], v[211:212]
	v_mul_f64 v[10:11], v[0:1], v[211:212]
	s_delay_alu instid0(VALU_DEP_2)
	v_fma_f64 v[8:9], v[0:1], v[209:210], -v[6:7]
	global_load_b128 v[4:7], v[4:5], off offset:2688
	v_fma_f64 v[10:11], v[2:3], v[209:210], v[10:11]
	ds_load_b128 v[209:212], v206 offset:9408
	s_waitcnt vmcnt(0) lgkmcnt(0)
	v_mul_f64 v[0:1], v[211:212], v[6:7]
	v_mul_f64 v[2:3], v[209:210], v[6:7]
	s_delay_alu instid0(VALU_DEP_2) | instskip(SKIP_1) | instid1(VALU_DEP_3)
	v_fma_f64 v[209:210], v[209:210], v[4:5], -v[0:1]
	v_add_co_u32 v0, vcc_lo, 0xa000, v207
	v_fma_f64 v[211:212], v[211:212], v[4:5], v[2:3]
	v_add_co_ci_u32_e32 v1, vcc_lo, 0, v208, vcc_lo
	global_load_b128 v[4:7], v[0:1], off offset:1376
	ds_load_b128 v[0:3], v206 offset:20384
	s_waitcnt vmcnt(0) lgkmcnt(0)
	v_mul_f64 v[12:13], v[2:3], v[6:7]
	v_mul_f64 v[6:7], v[0:1], v[6:7]
	s_delay_alu instid0(VALU_DEP_2) | instskip(NEXT) | instid1(VALU_DEP_2)
	v_fma_f64 v[0:1], v[0:1], v[4:5], -v[12:13]
	v_fma_f64 v[2:3], v[2:3], v[4:5], v[6:7]
	ds_store_b128 v206, v[28:31]
	ds_store_b128 v206, v[14:17] offset:1568
	ds_store_b128 v206, v[20:23] offset:12544
	;; [unrolled: 1-line block ×13, first 2 shown]
	s_waitcnt lgkmcnt(0)
	s_barrier
	buffer_gl0_inv
	ds_load_b128 v[0:3], v206 offset:10976
	ds_load_b128 v[4:7], v206
	ds_load_b128 v[8:11], v206 offset:1568
	ds_load_b128 v[12:15], v206 offset:12544
	;; [unrolled: 1-line block ×12, first 2 shown]
	s_waitcnt lgkmcnt(0)
	s_barrier
	buffer_gl0_inv
	scratch_load_b32 v32, off, off offset:256 ; 4-byte Folded Reload
	v_add_f64 v[0:1], v[4:5], -v[0:1]
	v_add_f64 v[2:3], v[6:7], -v[2:3]
	s_delay_alu instid0(VALU_DEP_2) | instskip(NEXT) | instid1(VALU_DEP_2)
	v_fma_f64 v[4:5], v[4:5], 2.0, -v[0:1]
	v_fma_f64 v[6:7], v[6:7], 2.0, -v[2:3]
	s_waitcnt vmcnt(0)
	ds_store_b128 v32, v[0:3] offset:16
	ds_store_b128 v32, v[4:7]
	v_add_f64 v[0:1], v[8:9], -v[12:13]
	v_add_f64 v[2:3], v[10:11], -v[14:15]
	s_delay_alu instid0(VALU_DEP_2)
	v_fma_f64 v[4:5], v[8:9], 2.0, -v[0:1]
	scratch_load_b32 v8, off, off offset:252 ; 4-byte Folded Reload
	v_fma_f64 v[6:7], v[10:11], 2.0, -v[2:3]
	s_waitcnt vmcnt(0)
	ds_store_b128 v8, v[4:7]
	ds_store_b128 v8, v[0:3] offset:16
	v_add_f64 v[0:1], v[24:25], -v[20:21]
	v_add_f64 v[2:3], v[26:27], -v[22:23]
	scratch_load_b32 v8, off, off offset:248 ; 4-byte Folded Reload
	v_fma_f64 v[4:5], v[24:25], 2.0, -v[0:1]
	v_fma_f64 v[6:7], v[26:27], 2.0, -v[2:3]
	s_waitcnt vmcnt(0)
	ds_store_b128 v8, v[4:7]
	ds_store_b128 v8, v[0:3] offset:16
	v_add_f64 v[0:1], v[28:29], -v[207:208]
	v_add_f64 v[2:3], v[30:31], -v[209:210]
	scratch_load_b32 v8, off, off offset:244 ; 4-byte Folded Reload
	v_fma_f64 v[4:5], v[28:29], 2.0, -v[0:1]
	;; [unrolled: 8-line block ×5, first 2 shown]
	v_fma_f64 v[6:7], v[18:19], 2.0, -v[2:3]
	s_waitcnt vmcnt(0)
	ds_store_b128 v8, v[4:7]
	ds_store_b128 v8, v[0:3] offset:16
	s_waitcnt lgkmcnt(0)
	s_barrier
	buffer_gl0_inv
	ds_load_b128 v[0:3], v206 offset:10976
	s_waitcnt lgkmcnt(0)
	v_mul_f64 v[4:5], v[58:59], v[2:3]
	s_delay_alu instid0(VALU_DEP_1) | instskip(SKIP_1) | instid1(VALU_DEP_1)
	v_fma_f64 v[4:5], v[56:57], v[0:1], v[4:5]
	v_mul_f64 v[0:1], v[58:59], v[0:1]
	v_fma_f64 v[6:7], v[56:57], v[2:3], -v[0:1]
	ds_load_b128 v[0:3], v206 offset:12544
	s_waitcnt lgkmcnt(0)
	v_mul_f64 v[8:9], v[58:59], v[2:3]
	s_delay_alu instid0(VALU_DEP_1) | instskip(SKIP_1) | instid1(VALU_DEP_1)
	v_fma_f64 v[32:33], v[56:57], v[0:1], v[8:9]
	v_mul_f64 v[0:1], v[58:59], v[0:1]
	v_fma_f64 v[34:35], v[56:57], v[2:3], -v[0:1]
	;; [unrolled: 7-line block ×7, first 2 shown]
	ds_load_b128 v[0:3], v206
	ds_load_b128 v[8:11], v206 offset:1568
	ds_load_b128 v[12:15], v206 offset:9408
	;; [unrolled: 1-line block ×6, first 2 shown]
	s_waitcnt lgkmcnt(0)
	s_barrier
	buffer_gl0_inv
	scratch_load_b32 v56, off, off offset:284 ; 4-byte Folded Reload
	v_add_f64 v[4:5], v[0:1], -v[4:5]
	v_add_f64 v[6:7], v[2:3], -v[6:7]
	s_delay_alu instid0(VALU_DEP_2) | instskip(NEXT) | instid1(VALU_DEP_2)
	v_fma_f64 v[0:1], v[0:1], 2.0, -v[4:5]
	v_fma_f64 v[2:3], v[2:3], 2.0, -v[6:7]
	s_waitcnt vmcnt(0)
	ds_store_b128 v56, v[4:7] offset:32
	ds_store_b128 v56, v[0:3]
	v_add_f64 v[0:1], v[8:9], -v[32:33]
	v_add_f64 v[2:3], v[10:11], -v[34:35]
	s_delay_alu instid0(VALU_DEP_2)
	v_fma_f64 v[4:5], v[8:9], 2.0, -v[0:1]
	scratch_load_b32 v8, off, off offset:280 ; 4-byte Folded Reload
	v_fma_f64 v[6:7], v[10:11], 2.0, -v[2:3]
	s_waitcnt vmcnt(0)
	ds_store_b128 v8, v[4:7]
	ds_store_b128 v8, v[0:3] offset:32
	v_add_f64 v[0:1], v[16:17], -v[36:37]
	v_add_f64 v[2:3], v[18:19], -v[38:39]
	scratch_load_b32 v8, off, off offset:276 ; 4-byte Folded Reload
	v_fma_f64 v[4:5], v[16:17], 2.0, -v[0:1]
	v_fma_f64 v[6:7], v[18:19], 2.0, -v[2:3]
	s_waitcnt vmcnt(0)
	ds_store_b128 v8, v[4:7]
	ds_store_b128 v8, v[0:3] offset:32
	v_add_f64 v[0:1], v[20:21], -v[40:41]
	v_add_f64 v[2:3], v[22:23], -v[42:43]
	scratch_load_b32 v8, off, off offset:272 ; 4-byte Folded Reload
	v_fma_f64 v[4:5], v[20:21], 2.0, -v[0:1]
	v_fma_f64 v[6:7], v[22:23], 2.0, -v[2:3]
	s_waitcnt vmcnt(0)
	ds_store_b128 v8, v[4:7]
	ds_store_b128 v8, v[0:3] offset:32
	v_add_f64 v[0:1], v[24:25], -v[44:45]
	v_add_f64 v[2:3], v[26:27], -v[46:47]
	scratch_load_b32 v8, off, off offset:268 ; 4-byte Folded Reload
	v_fma_f64 v[4:5], v[24:25], 2.0, -v[0:1]
	v_fma_f64 v[6:7], v[26:27], 2.0, -v[2:3]
	s_waitcnt vmcnt(0)
	ds_store_b128 v8, v[4:7]
	ds_store_b128 v8, v[0:3] offset:32
	v_add_f64 v[0:1], v[28:29], -v[48:49]
	v_add_f64 v[2:3], v[30:31], -v[50:51]
	scratch_load_b32 v8, off, off offset:264 ; 4-byte Folded Reload
	v_fma_f64 v[4:5], v[28:29], 2.0, -v[0:1]
	v_fma_f64 v[6:7], v[30:31], 2.0, -v[2:3]
	s_waitcnt vmcnt(0)
	ds_store_b128 v8, v[4:7]
	ds_store_b128 v8, v[0:3] offset:32
	v_add_f64 v[0:1], v[12:13], -v[52:53]
	v_add_f64 v[2:3], v[14:15], -v[54:55]
	scratch_load_b32 v8, off, off offset:260 ; 4-byte Folded Reload
	v_fma_f64 v[4:5], v[12:13], 2.0, -v[0:1]
	v_fma_f64 v[6:7], v[14:15], 2.0, -v[2:3]
	s_waitcnt vmcnt(0)
	ds_store_b128 v8, v[4:7]
	ds_store_b128 v8, v[0:3] offset:32
	s_waitcnt lgkmcnt(0)
	s_barrier
	buffer_gl0_inv
	ds_load_b128 v[0:3], v206 offset:3136
	s_waitcnt lgkmcnt(0)
	v_mul_f64 v[4:5], v[223:224], v[2:3]
	s_delay_alu instid0(VALU_DEP_1) | instskip(SKIP_1) | instid1(VALU_DEP_1)
	v_fma_f64 v[4:5], v[221:222], v[0:1], v[4:5]
	v_mul_f64 v[0:1], v[223:224], v[0:1]
	v_fma_f64 v[6:7], v[221:222], v[2:3], -v[0:1]
	ds_load_b128 v[0:3], v206 offset:6272
	s_waitcnt lgkmcnt(0)
	v_mul_f64 v[8:9], v[106:107], v[2:3]
	s_delay_alu instid0(VALU_DEP_1) | instskip(SKIP_1) | instid1(VALU_DEP_1)
	v_fma_f64 v[8:9], v[104:105], v[0:1], v[8:9]
	v_mul_f64 v[0:1], v[106:107], v[0:1]
	v_fma_f64 v[10:11], v[104:105], v[2:3], -v[0:1]
	ds_load_b128 v[0:3], v206 offset:15680
	s_waitcnt lgkmcnt(0)
	v_mul_f64 v[12:13], v[102:103], v[2:3]
	s_delay_alu instid0(VALU_DEP_1) | instskip(SKIP_1) | instid1(VALU_DEP_2)
	v_fma_f64 v[12:13], v[100:101], v[0:1], v[12:13]
	v_mul_f64 v[0:1], v[102:103], v[0:1]
	v_add_f64 v[30:31], v[8:9], v[12:13]
	s_delay_alu instid0(VALU_DEP_2)
	v_fma_f64 v[14:15], v[100:101], v[2:3], -v[0:1]
	ds_load_b128 v[0:3], v206 offset:18816
	v_add_f64 v[8:9], v[8:9], -v[12:13]
	s_waitcnt lgkmcnt(0)
	v_mul_f64 v[16:17], v[219:220], v[2:3]
	v_add_f64 v[62:63], v[10:11], v[14:15]
	s_delay_alu instid0(VALU_DEP_2) | instskip(SKIP_1) | instid1(VALU_DEP_1)
	v_fma_f64 v[16:17], v[217:218], v[0:1], v[16:17]
	v_mul_f64 v[0:1], v[219:220], v[0:1]
	v_fma_f64 v[18:19], v[217:218], v[2:3], -v[0:1]
	ds_load_b128 v[0:3], v206 offset:4704
	s_waitcnt lgkmcnt(0)
	v_mul_f64 v[20:21], v[90:91], v[2:3]
	v_add_f64 v[60:61], v[6:7], v[18:19]
	v_add_f64 v[18:19], v[6:7], -v[18:19]
	s_delay_alu instid0(VALU_DEP_3) | instskip(SKIP_1) | instid1(VALU_DEP_1)
	v_fma_f64 v[32:33], v[88:89], v[0:1], v[20:21]
	v_mul_f64 v[0:1], v[90:91], v[0:1]
	v_fma_f64 v[34:35], v[88:89], v[2:3], -v[0:1]
	ds_load_b128 v[0:3], v206 offset:7840
	s_waitcnt lgkmcnt(0)
	v_mul_f64 v[20:21], v[98:99], v[2:3]
	s_delay_alu instid0(VALU_DEP_1) | instskip(SKIP_1) | instid1(VALU_DEP_1)
	v_fma_f64 v[36:37], v[96:97], v[0:1], v[20:21]
	v_mul_f64 v[0:1], v[98:99], v[0:1]
	v_fma_f64 v[38:39], v[96:97], v[2:3], -v[0:1]
	ds_load_b128 v[0:3], v206 offset:20384
	s_waitcnt lgkmcnt(0)
	v_mul_f64 v[20:21], v[82:83], v[2:3]
	s_delay_alu instid0(VALU_DEP_1) | instskip(SKIP_1) | instid1(VALU_DEP_1)
	;; [unrolled: 7-line block ×4, first 2 shown]
	v_fma_f64 v[20:21], v[76:77], v[0:1], v[20:21]
	v_mul_f64 v[0:1], v[78:79], v[0:1]
	v_fma_f64 v[22:23], v[76:77], v[2:3], -v[0:1]
	ds_load_b128 v[0:3], v206 offset:12544
	s_waitcnt lgkmcnt(0)
	v_mul_f64 v[24:25], v[86:87], v[2:3]
	s_delay_alu instid0(VALU_DEP_1) | instskip(SKIP_1) | instid1(VALU_DEP_2)
	v_fma_f64 v[24:25], v[84:85], v[0:1], v[24:25]
	v_mul_f64 v[0:1], v[86:87], v[0:1]
	v_add_f64 v[12:13], v[24:25], -v[20:21]
	s_delay_alu instid0(VALU_DEP_2)
	v_fma_f64 v[26:27], v[84:85], v[2:3], -v[0:1]
	ds_load_b128 v[0:3], v206 offset:10976
	v_add_f64 v[56:57], v[20:21], v[24:25]
	s_waitcnt lgkmcnt(0)
	v_mul_f64 v[28:29], v[215:216], v[2:3]
	v_add_f64 v[6:7], v[12:13], -v[8:9]
	v_add_f64 v[64:65], v[22:23], v[26:27]
	s_delay_alu instid0(VALU_DEP_4) | instskip(NEXT) | instid1(VALU_DEP_4)
	v_add_f64 v[24:25], v[56:57], -v[30:31]
	v_fma_f64 v[48:49], v[213:214], v[0:1], v[28:29]
	v_mul_f64 v[0:1], v[215:216], v[0:1]
	v_mul_f64 v[68:69], v[6:7], s[18:19]
	s_delay_alu instid0(VALU_DEP_2) | instskip(SKIP_3) | instid1(VALU_DEP_1)
	v_fma_f64 v[50:51], v[213:214], v[2:3], -v[0:1]
	ds_load_b128 v[0:3], v206 offset:14112
	s_waitcnt lgkmcnt(0)
	v_mul_f64 v[28:29], v[94:95], v[2:3]
	v_fma_f64 v[52:53], v[92:93], v[0:1], v[28:29]
	v_mul_f64 v[0:1], v[94:95], v[0:1]
	v_add_f64 v[28:29], v[4:5], v[16:17]
	v_add_f64 v[16:17], v[4:5], -v[16:17]
	v_add_f64 v[4:5], v[10:11], -v[14:15]
	;; [unrolled: 1-line block ×3, first 2 shown]
	v_fma_f64 v[54:55], v[92:93], v[2:3], -v[0:1]
	v_add_f64 v[0:1], v[30:31], v[28:29]
	v_add_f64 v[20:21], v[8:9], -v[16:17]
	v_add_f64 v[8:9], v[12:13], v[8:9]
	v_add_f64 v[10:11], v[14:15], -v[4:5]
	v_add_f64 v[22:23], v[4:5], -v[18:19]
	;; [unrolled: 1-line block ×4, first 2 shown]
	v_add_f64 v[4:5], v[14:15], v[4:5]
	v_add_f64 v[30:31], v[64:65], -v[62:63]
	v_add_f64 v[58:59], v[56:57], v[0:1]
	v_add_f64 v[0:1], v[62:63], v[60:61]
	v_add_f64 v[72:73], v[8:9], v[16:17]
	v_mul_f64 v[70:71], v[10:11], s[18:19]
	v_fma_f64 v[8:9], v[20:21], s[12:13], -v[68:69]
	v_add_f64 v[56:57], v[60:61], -v[64:65]
	v_add_f64 v[62:63], v[62:63], -v[60:61]
	;; [unrolled: 1-line block ×3, first 2 shown]
	v_mul_f64 v[12:13], v[20:21], s[8:9]
	v_mul_f64 v[20:21], v[28:29], s[24:25]
	v_add_f64 v[74:75], v[4:5], v[18:19]
	v_mul_f64 v[4:5], v[24:25], s[2:3]
	v_mul_f64 v[6:7], v[30:31], s[2:3]
	v_add_f64 v[66:67], v[64:65], v[0:1]
	ds_load_b128 v[0:3], v206
	v_add_f64 v[64:65], v[18:19], -v[14:15]
	v_fma_f64 v[10:11], v[72:73], s[20:21], v[8:9]
	v_fma_f64 v[8:9], v[22:23], s[12:13], -v[70:71]
	v_mul_f64 v[14:15], v[22:23], s[8:9]
	v_mul_f64 v[22:23], v[56:57], s[24:25]
	v_fma_f64 v[12:13], v[60:61], s[28:29], v[12:13]
	v_fma_f64 v[16:17], v[26:27], s[26:27], -v[20:21]
	v_fma_f64 v[20:21], v[24:25], s[2:3], v[20:21]
	v_fma_f64 v[4:5], v[26:27], s[16:17], -v[4:5]
	v_fma_f64 v[6:7], v[62:63], s[16:17], -v[6:7]
	s_waitcnt lgkmcnt(0)
	v_add_f64 v[0:1], v[0:1], v[58:59]
	v_add_f64 v[2:3], v[2:3], v[66:67]
	v_fma_f64 v[8:9], v[74:75], s[20:21], v[8:9]
	v_fma_f64 v[14:15], v[64:65], s[28:29], v[14:15]
	v_fma_f64 v[18:19], v[62:63], s[26:27], -v[22:23]
	v_fma_f64 v[26:27], v[72:73], s[20:21], v[12:13]
	v_fma_f64 v[22:23], v[30:31], s[2:3], v[22:23]
	;; [unrolled: 1-line block ×5, first 2 shown]
	s_delay_alu instid0(VALU_DEP_3) | instskip(SKIP_1) | instid1(VALU_DEP_4)
	v_add_f64 v[16:17], v[16:17], v[58:59]
	v_add_f64 v[76:77], v[4:5], v[58:59]
	;; [unrolled: 1-line block ×6, first 2 shown]
	v_add_f64 v[16:17], v[16:17], -v[28:29]
	v_fma_f64 v[28:29], v[64:65], s[22:23], v[70:71]
	v_add_f64 v[4:5], v[76:77], -v[8:9]
	v_add_f64 v[8:9], v[8:9], v[76:77]
	v_add_f64 v[14:15], v[18:19], -v[26:27]
	v_add_f64 v[18:19], v[26:27], v[18:19]
	v_fma_f64 v[26:27], v[60:61], s[22:23], v[68:69]
	v_add_f64 v[6:7], v[10:11], v[78:79]
	v_add_f64 v[10:11], v[78:79], -v[10:11]
	v_fma_f64 v[24:25], v[74:75], s[20:21], v[28:29]
	v_add_f64 v[28:29], v[20:21], v[58:59]
	v_fma_f64 v[26:27], v[72:73], s[20:21], v[26:27]
	s_delay_alu instid0(VALU_DEP_2) | instskip(SKIP_1) | instid1(VALU_DEP_3)
	v_add_f64 v[20:21], v[24:25], v[28:29]
	v_add_f64 v[24:25], v[28:29], -v[24:25]
	v_add_f64 v[22:23], v[30:31], -v[26:27]
	v_add_f64 v[26:27], v[26:27], v[30:31]
	ds_load_b128 v[28:31], v206 offset:1568
	s_waitcnt lgkmcnt(0)
	s_barrier
	buffer_gl0_inv
	ds_store_b128 v205, v[0:3]
	ds_store_b128 v205, v[20:23] offset:64
	ds_store_b128 v205, v[12:15] offset:128
	;; [unrolled: 1-line block ×6, first 2 shown]
	v_add_f64 v[12:13], v[32:33], v[40:41]
	v_add_f64 v[4:5], v[36:37], v[44:45]
	;; [unrolled: 1-line block ×6, first 2 shown]
	v_add_f64 v[20:21], v[36:37], -v[44:45]
	v_add_f64 v[22:23], v[52:53], -v[48:49]
	;; [unrolled: 1-line block ×4, first 2 shown]
	v_add_f64 v[0:1], v[4:5], v[12:13]
	v_add_f64 v[40:41], v[14:15], -v[4:5]
	v_add_f64 v[46:47], v[8:9], -v[16:17]
	;; [unrolled: 1-line block ×4, first 2 shown]
	v_add_f64 v[6:7], v[14:15], v[0:1]
	v_add_f64 v[0:1], v[8:9], v[16:17]
	s_delay_alu instid0(VALU_DEP_4) | instskip(NEXT) | instid1(VALU_DEP_4)
	v_mul_f64 v[8:9], v[44:45], s[2:3]
	v_mul_f64 v[32:33], v[32:33], s[18:19]
	s_delay_alu instid0(VALU_DEP_3) | instskip(SKIP_3) | instid1(VALU_DEP_4)
	v_add_f64 v[10:11], v[18:19], v[0:1]
	v_add_f64 v[0:1], v[28:29], v[6:7]
	v_add_f64 v[28:29], v[54:55], -v[50:51]
	v_fma_f64 v[8:9], v[46:47], s[16:17], -v[8:9]
	v_add_f64 v[2:3], v[30:31], v[10:11]
	v_add_f64 v[30:31], v[34:35], -v[42:43]
	v_add_f64 v[34:35], v[20:21], -v[24:25]
	v_add_f64 v[20:21], v[22:23], v[20:21]
	v_add_f64 v[36:37], v[28:29], -v[26:27]
	v_add_f64 v[42:43], v[4:5], -v[12:13]
	;; [unrolled: 1-line block ×4, first 2 shown]
	v_fma_f64 v[48:49], v[6:7], s[14:15], v[0:1]
	v_add_f64 v[22:23], v[24:25], -v[22:23]
	v_mul_f64 v[4:5], v[40:41], s[2:3]
	v_fma_f64 v[50:51], v[10:11], s[14:15], v[2:3]
	v_add_f64 v[38:39], v[26:27], -v[30:31]
	v_add_f64 v[26:27], v[28:29], v[26:27]
	v_add_f64 v[20:21], v[20:21], v[24:25]
	v_mul_f64 v[36:37], v[36:37], s[18:19]
	v_fma_f64 v[6:7], v[34:35], s[12:13], -v[32:33]
	v_add_f64 v[24:25], v[30:31], -v[28:29]
	v_mul_f64 v[16:17], v[34:35], s[8:9]
	v_mul_f64 v[28:29], v[12:13], s[24:25]
	v_fma_f64 v[4:5], v[42:43], s[16:17], -v[4:5]
	v_add_f64 v[56:57], v[8:9], v[50:51]
	v_mul_f64 v[18:19], v[38:39], s[8:9]
	v_add_f64 v[26:27], v[26:27], v[30:31]
	v_mul_f64 v[30:31], v[14:15], s[24:25]
	v_fma_f64 v[10:11], v[20:21], s[20:21], v[6:7]
	v_fma_f64 v[6:7], v[38:39], s[12:13], -v[36:37]
	v_fma_f64 v[12:13], v[22:23], s[28:29], v[16:17]
	v_fma_f64 v[16:17], v[42:43], s[26:27], -v[28:29]
	v_fma_f64 v[22:23], v[22:23], s[22:23], v[32:33]
	v_fma_f64 v[28:29], v[40:41], s[2:3], v[28:29]
	v_add_f64 v[54:55], v[4:5], v[48:49]
	v_fma_f64 v[14:15], v[24:25], s[28:29], v[18:19]
	v_fma_f64 v[24:25], v[24:25], s[22:23], v[36:37]
	v_fma_f64 v[18:19], v[46:47], s[26:27], -v[30:31]
	v_fma_f64 v[30:31], v[44:45], s[2:3], v[30:31]
	v_fma_f64 v[52:53], v[26:27], s[20:21], v[6:7]
	;; [unrolled: 1-line block ×3, first 2 shown]
	v_add_f64 v[16:17], v[16:17], v[48:49]
	v_fma_f64 v[32:33], v[20:21], s[20:21], v[22:23]
	v_add_f64 v[6:7], v[10:11], v[56:57]
	v_add_f64 v[10:11], v[56:57], -v[10:11]
	v_fma_f64 v[38:39], v[26:27], s[20:21], v[14:15]
	v_fma_f64 v[24:25], v[26:27], s[20:21], v[24:25]
	v_add_f64 v[26:27], v[28:29], v[48:49]
	v_add_f64 v[28:29], v[30:31], v[50:51]
	;; [unrolled: 1-line block ×3, first 2 shown]
	v_add_f64 v[4:5], v[54:55], -v[52:53]
	v_add_f64 v[8:9], v[52:53], v[54:55]
	v_add_f64 v[12:13], v[38:39], v[16:17]
	v_add_f64 v[16:17], v[16:17], -v[38:39]
	v_add_f64 v[20:21], v[24:25], v[26:27]
	v_add_f64 v[22:23], v[28:29], -v[32:33]
	v_add_f64 v[14:15], v[18:19], -v[34:35]
	v_add_f64 v[18:19], v[34:35], v[18:19]
	v_add_f64 v[24:25], v[26:27], -v[24:25]
	v_add_f64 v[26:27], v[32:33], v[28:29]
	ds_store_b128 v204, v[0:3]
	ds_store_b128 v204, v[20:23] offset:64
	ds_store_b128 v204, v[12:15] offset:128
	;; [unrolled: 1-line block ×6, first 2 shown]
	s_waitcnt lgkmcnt(0)
	s_barrier
	buffer_gl0_inv
	ds_load_b128 v[0:3], v206 offset:3136
	s_waitcnt lgkmcnt(0)
	v_mul_f64 v[4:5], v[110:111], v[2:3]
	s_delay_alu instid0(VALU_DEP_1) | instskip(SKIP_1) | instid1(VALU_DEP_1)
	v_fma_f64 v[4:5], v[108:109], v[0:1], v[4:5]
	v_mul_f64 v[0:1], v[110:111], v[0:1]
	v_fma_f64 v[6:7], v[108:109], v[2:3], -v[0:1]
	ds_load_b128 v[0:3], v206 offset:6272
	s_waitcnt lgkmcnt(0)
	v_mul_f64 v[8:9], v[122:123], v[2:3]
	s_delay_alu instid0(VALU_DEP_1) | instskip(SKIP_1) | instid1(VALU_DEP_1)
	v_fma_f64 v[8:9], v[120:121], v[0:1], v[8:9]
	v_mul_f64 v[0:1], v[122:123], v[0:1]
	v_fma_f64 v[10:11], v[120:121], v[2:3], -v[0:1]
	;; [unrolled: 7-line block ×3, first 2 shown]
	ds_load_b128 v[0:3], v206 offset:15680
	s_waitcnt lgkmcnt(0)
	v_mul_f64 v[16:17], v[130:131], v[2:3]
	v_add_f64 v[60:61], v[6:7], v[14:15]
	v_add_f64 v[14:15], v[6:7], -v[14:15]
	s_delay_alu instid0(VALU_DEP_3) | instskip(SKIP_1) | instid1(VALU_DEP_2)
	v_fma_f64 v[16:17], v[128:129], v[0:1], v[16:17]
	v_mul_f64 v[0:1], v[130:131], v[0:1]
	v_add_f64 v[30:31], v[8:9], v[16:17]
	s_delay_alu instid0(VALU_DEP_2)
	v_fma_f64 v[18:19], v[128:129], v[2:3], -v[0:1]
	ds_load_b128 v[0:3], v206 offset:4704
	v_add_f64 v[8:9], v[8:9], -v[16:17]
	s_waitcnt lgkmcnt(0)
	v_mul_f64 v[20:21], v[142:143], v[2:3]
	v_add_f64 v[62:63], v[10:11], v[18:19]
	s_delay_alu instid0(VALU_DEP_2) | instskip(SKIP_1) | instid1(VALU_DEP_1)
	v_fma_f64 v[32:33], v[140:141], v[0:1], v[20:21]
	v_mul_f64 v[0:1], v[142:143], v[0:1]
	v_fma_f64 v[34:35], v[140:141], v[2:3], -v[0:1]
	ds_load_b128 v[0:3], v206 offset:7840
	s_waitcnt lgkmcnt(0)
	v_mul_f64 v[20:21], v[150:151], v[2:3]
	s_delay_alu instid0(VALU_DEP_1) | instskip(SKIP_1) | instid1(VALU_DEP_1)
	v_fma_f64 v[36:37], v[148:149], v[0:1], v[20:21]
	v_mul_f64 v[0:1], v[150:151], v[0:1]
	v_fma_f64 v[38:39], v[148:149], v[2:3], -v[0:1]
	ds_load_b128 v[0:3], v206 offset:20384
	s_waitcnt lgkmcnt(0)
	v_mul_f64 v[20:21], v[166:167], v[2:3]
	s_delay_alu instid0(VALU_DEP_1) | instskip(SKIP_1) | instid1(VALU_DEP_1)
	;; [unrolled: 7-line block ×4, first 2 shown]
	v_fma_f64 v[20:21], v[112:113], v[0:1], v[20:21]
	v_mul_f64 v[0:1], v[114:115], v[0:1]
	v_fma_f64 v[22:23], v[112:113], v[2:3], -v[0:1]
	ds_load_b128 v[0:3], v206 offset:12544
	s_waitcnt lgkmcnt(0)
	v_mul_f64 v[24:25], v[118:119], v[2:3]
	s_delay_alu instid0(VALU_DEP_1) | instskip(SKIP_1) | instid1(VALU_DEP_2)
	v_fma_f64 v[24:25], v[116:117], v[0:1], v[24:25]
	v_mul_f64 v[0:1], v[118:119], v[0:1]
	v_add_f64 v[16:17], v[24:25], -v[20:21]
	s_delay_alu instid0(VALU_DEP_2)
	v_fma_f64 v[26:27], v[116:117], v[2:3], -v[0:1]
	ds_load_b128 v[0:3], v206 offset:10976
	v_add_f64 v[56:57], v[20:21], v[24:25]
	s_waitcnt lgkmcnt(0)
	v_mul_f64 v[28:29], v[134:135], v[2:3]
	v_add_f64 v[6:7], v[16:17], -v[8:9]
	v_add_f64 v[64:65], v[22:23], v[26:27]
	s_delay_alu instid0(VALU_DEP_4) | instskip(NEXT) | instid1(VALU_DEP_4)
	v_add_f64 v[24:25], v[56:57], -v[30:31]
	v_fma_f64 v[48:49], v[132:133], v[0:1], v[28:29]
	v_mul_f64 v[0:1], v[134:135], v[0:1]
	v_mul_f64 v[68:69], v[6:7], s[18:19]
	s_delay_alu instid0(VALU_DEP_2) | instskip(SKIP_3) | instid1(VALU_DEP_1)
	v_fma_f64 v[50:51], v[132:133], v[2:3], -v[0:1]
	ds_load_b128 v[0:3], v206 offset:14112
	s_waitcnt lgkmcnt(0)
	v_mul_f64 v[28:29], v[146:147], v[2:3]
	v_fma_f64 v[52:53], v[144:145], v[0:1], v[28:29]
	v_mul_f64 v[0:1], v[146:147], v[0:1]
	v_add_f64 v[28:29], v[4:5], v[12:13]
	v_add_f64 v[12:13], v[4:5], -v[12:13]
	v_add_f64 v[4:5], v[10:11], -v[18:19]
	v_add_f64 v[18:19], v[26:27], -v[22:23]
	v_fma_f64 v[54:55], v[144:145], v[2:3], -v[0:1]
	v_add_f64 v[0:1], v[30:31], v[28:29]
	v_add_f64 v[20:21], v[8:9], -v[12:13]
	v_add_f64 v[8:9], v[16:17], v[8:9]
	v_add_f64 v[10:11], v[18:19], -v[4:5]
	v_add_f64 v[22:23], v[4:5], -v[14:15]
	v_add_f64 v[4:5], v[18:19], v[4:5]
	v_add_f64 v[26:27], v[30:31], -v[28:29]
	v_add_f64 v[28:29], v[28:29], -v[56:57]
	;; [unrolled: 1-line block ×3, first 2 shown]
	v_add_f64 v[58:59], v[56:57], v[0:1]
	v_add_f64 v[0:1], v[62:63], v[60:61]
	v_add_f64 v[72:73], v[8:9], v[12:13]
	v_mul_f64 v[70:71], v[10:11], s[18:19]
	v_fma_f64 v[8:9], v[20:21], s[12:13], -v[68:69]
	v_add_f64 v[56:57], v[60:61], -v[64:65]
	v_add_f64 v[62:63], v[62:63], -v[60:61]
	v_add_f64 v[74:75], v[4:5], v[14:15]
	v_add_f64 v[60:61], v[12:13], -v[16:17]
	v_mul_f64 v[12:13], v[20:21], s[8:9]
	v_mul_f64 v[20:21], v[28:29], s[24:25]
	;; [unrolled: 1-line block ×4, first 2 shown]
	v_add_f64 v[66:67], v[64:65], v[0:1]
	ds_load_b128 v[0:3], v206
	v_add_f64 v[64:65], v[14:15], -v[18:19]
	v_fma_f64 v[10:11], v[72:73], s[20:21], v[8:9]
	v_fma_f64 v[8:9], v[22:23], s[12:13], -v[70:71]
	v_mul_f64 v[14:15], v[22:23], s[8:9]
	v_mul_f64 v[22:23], v[56:57], s[24:25]
	v_fma_f64 v[12:13], v[60:61], s[28:29], v[12:13]
	v_fma_f64 v[16:17], v[26:27], s[26:27], -v[20:21]
	v_fma_f64 v[4:5], v[26:27], s[16:17], -v[4:5]
	v_fma_f64 v[20:21], v[24:25], s[2:3], v[20:21]
	v_fma_f64 v[6:7], v[62:63], s[16:17], -v[6:7]
	s_waitcnt lgkmcnt(0)
	v_add_f64 v[0:1], v[0:1], v[58:59]
	v_add_f64 v[2:3], v[2:3], v[66:67]
	v_fma_f64 v[8:9], v[74:75], s[20:21], v[8:9]
	v_fma_f64 v[14:15], v[64:65], s[28:29], v[14:15]
	v_fma_f64 v[18:19], v[62:63], s[26:27], -v[22:23]
	v_fma_f64 v[22:23], v[30:31], s[2:3], v[22:23]
	v_fma_f64 v[26:27], v[72:73], s[20:21], v[12:13]
	;; [unrolled: 1-line block ×5, first 2 shown]
	s_delay_alu instid0(VALU_DEP_3) | instskip(SKIP_1) | instid1(VALU_DEP_4)
	v_add_f64 v[16:17], v[16:17], v[58:59]
	v_add_f64 v[76:77], v[4:5], v[58:59]
	;; [unrolled: 1-line block ×6, first 2 shown]
	v_add_f64 v[16:17], v[16:17], -v[28:29]
	v_fma_f64 v[28:29], v[64:65], s[22:23], v[70:71]
	v_add_f64 v[4:5], v[76:77], -v[8:9]
	v_add_f64 v[8:9], v[8:9], v[76:77]
	v_add_f64 v[14:15], v[18:19], -v[26:27]
	v_add_f64 v[18:19], v[26:27], v[18:19]
	v_fma_f64 v[26:27], v[60:61], s[22:23], v[68:69]
	v_add_f64 v[6:7], v[10:11], v[78:79]
	v_add_f64 v[10:11], v[78:79], -v[10:11]
	v_fma_f64 v[24:25], v[74:75], s[20:21], v[28:29]
	v_add_f64 v[28:29], v[20:21], v[58:59]
	v_fma_f64 v[26:27], v[72:73], s[20:21], v[26:27]
	s_delay_alu instid0(VALU_DEP_2) | instskip(SKIP_1) | instid1(VALU_DEP_3)
	v_add_f64 v[20:21], v[24:25], v[28:29]
	v_add_f64 v[24:25], v[28:29], -v[24:25]
	v_add_f64 v[22:23], v[30:31], -v[26:27]
	v_add_f64 v[26:27], v[26:27], v[30:31]
	ds_load_b128 v[28:31], v206 offset:1568
	s_waitcnt lgkmcnt(0)
	s_barrier
	buffer_gl0_inv
	ds_store_b128 v226, v[0:3]
	ds_store_b128 v226, v[20:23] offset:448
	ds_store_b128 v226, v[12:15] offset:896
	;; [unrolled: 1-line block ×6, first 2 shown]
	v_add_f64 v[12:13], v[32:33], v[40:41]
	v_add_f64 v[4:5], v[36:37], v[44:45]
	;; [unrolled: 1-line block ×6, first 2 shown]
	v_add_f64 v[20:21], v[36:37], -v[44:45]
	v_add_f64 v[22:23], v[52:53], -v[48:49]
	;; [unrolled: 1-line block ×4, first 2 shown]
	v_add_f64 v[0:1], v[4:5], v[12:13]
	v_add_f64 v[40:41], v[14:15], -v[4:5]
	v_add_f64 v[46:47], v[8:9], -v[16:17]
	;; [unrolled: 1-line block ×4, first 2 shown]
	v_add_f64 v[6:7], v[14:15], v[0:1]
	v_add_f64 v[0:1], v[8:9], v[16:17]
	s_delay_alu instid0(VALU_DEP_4) | instskip(NEXT) | instid1(VALU_DEP_4)
	v_mul_f64 v[8:9], v[44:45], s[2:3]
	v_mul_f64 v[32:33], v[32:33], s[18:19]
	s_delay_alu instid0(VALU_DEP_3) | instskip(SKIP_3) | instid1(VALU_DEP_4)
	v_add_f64 v[10:11], v[18:19], v[0:1]
	v_add_f64 v[0:1], v[28:29], v[6:7]
	v_add_f64 v[28:29], v[54:55], -v[50:51]
	v_fma_f64 v[8:9], v[46:47], s[16:17], -v[8:9]
	v_add_f64 v[2:3], v[30:31], v[10:11]
	v_add_f64 v[30:31], v[34:35], -v[42:43]
	v_add_f64 v[34:35], v[20:21], -v[24:25]
	v_add_f64 v[20:21], v[22:23], v[20:21]
	v_add_f64 v[36:37], v[28:29], -v[26:27]
	v_add_f64 v[42:43], v[4:5], -v[12:13]
	;; [unrolled: 1-line block ×4, first 2 shown]
	v_fma_f64 v[48:49], v[6:7], s[14:15], v[0:1]
	v_add_f64 v[22:23], v[24:25], -v[22:23]
	v_mul_f64 v[4:5], v[40:41], s[2:3]
	v_fma_f64 v[50:51], v[10:11], s[14:15], v[2:3]
	v_add_f64 v[38:39], v[26:27], -v[30:31]
	v_add_f64 v[26:27], v[28:29], v[26:27]
	v_add_f64 v[20:21], v[20:21], v[24:25]
	v_mul_f64 v[36:37], v[36:37], s[18:19]
	v_fma_f64 v[6:7], v[34:35], s[12:13], -v[32:33]
	v_add_f64 v[24:25], v[30:31], -v[28:29]
	v_mul_f64 v[16:17], v[34:35], s[8:9]
	v_mul_f64 v[28:29], v[12:13], s[24:25]
	v_fma_f64 v[4:5], v[42:43], s[16:17], -v[4:5]
	v_add_f64 v[56:57], v[8:9], v[50:51]
	v_mul_f64 v[18:19], v[38:39], s[8:9]
	v_add_f64 v[26:27], v[26:27], v[30:31]
	v_mul_f64 v[30:31], v[14:15], s[24:25]
	v_fma_f64 v[10:11], v[20:21], s[20:21], v[6:7]
	v_fma_f64 v[6:7], v[38:39], s[12:13], -v[36:37]
	v_fma_f64 v[12:13], v[22:23], s[28:29], v[16:17]
	v_fma_f64 v[16:17], v[42:43], s[26:27], -v[28:29]
	v_fma_f64 v[22:23], v[22:23], s[22:23], v[32:33]
	v_fma_f64 v[28:29], v[40:41], s[2:3], v[28:29]
	v_add_f64 v[54:55], v[4:5], v[48:49]
	v_fma_f64 v[14:15], v[24:25], s[28:29], v[18:19]
	v_fma_f64 v[24:25], v[24:25], s[22:23], v[36:37]
	v_fma_f64 v[18:19], v[46:47], s[26:27], -v[30:31]
	v_fma_f64 v[30:31], v[44:45], s[2:3], v[30:31]
	v_fma_f64 v[52:53], v[26:27], s[20:21], v[6:7]
	;; [unrolled: 1-line block ×3, first 2 shown]
	v_add_f64 v[16:17], v[16:17], v[48:49]
	v_fma_f64 v[32:33], v[20:21], s[20:21], v[22:23]
	v_add_f64 v[6:7], v[10:11], v[56:57]
	v_add_f64 v[10:11], v[56:57], -v[10:11]
	v_fma_f64 v[38:39], v[26:27], s[20:21], v[14:15]
	v_fma_f64 v[24:25], v[26:27], s[20:21], v[24:25]
	v_add_f64 v[26:27], v[28:29], v[48:49]
	v_add_f64 v[28:29], v[30:31], v[50:51]
	v_add_f64 v[18:19], v[18:19], v[50:51]
	v_add_f64 v[4:5], v[54:55], -v[52:53]
	v_add_f64 v[8:9], v[52:53], v[54:55]
	v_add_f64 v[12:13], v[38:39], v[16:17]
	v_add_f64 v[16:17], v[16:17], -v[38:39]
	v_add_f64 v[20:21], v[24:25], v[26:27]
	v_add_f64 v[22:23], v[28:29], -v[32:33]
	v_add_f64 v[14:15], v[18:19], -v[34:35]
	v_add_f64 v[18:19], v[34:35], v[18:19]
	v_add_f64 v[24:25], v[26:27], -v[24:25]
	v_add_f64 v[26:27], v[32:33], v[28:29]
	ds_store_b128 v225, v[0:3]
	ds_store_b128 v225, v[20:23] offset:448
	ds_store_b128 v225, v[12:15] offset:896
	;; [unrolled: 1-line block ×6, first 2 shown]
	s_waitcnt lgkmcnt(0)
	s_barrier
	buffer_gl0_inv
	ds_load_b128 v[0:3], v206 offset:3136
	s_waitcnt lgkmcnt(0)
	v_mul_f64 v[4:5], v[138:139], v[2:3]
	s_delay_alu instid0(VALU_DEP_1) | instskip(SKIP_1) | instid1(VALU_DEP_1)
	v_fma_f64 v[8:9], v[136:137], v[0:1], v[4:5]
	v_mul_f64 v[0:1], v[138:139], v[0:1]
	v_fma_f64 v[10:11], v[136:137], v[2:3], -v[0:1]
	ds_load_b128 v[0:3], v206 offset:6272
	s_waitcnt lgkmcnt(0)
	v_mul_f64 v[4:5], v[170:171], v[2:3]
	s_delay_alu instid0(VALU_DEP_1) | instskip(SKIP_1) | instid1(VALU_DEP_1)
	v_fma_f64 v[12:13], v[168:169], v[0:1], v[4:5]
	v_mul_f64 v[0:1], v[170:171], v[0:1]
	v_fma_f64 v[14:15], v[168:169], v[2:3], -v[0:1]
	ds_load_b128 v[0:3], v206 offset:18816
	s_waitcnt lgkmcnt(0)
	v_mul_f64 v[4:5], v[178:179], v[2:3]
	s_delay_alu instid0(VALU_DEP_1) | instskip(SKIP_1) | instid1(VALU_DEP_2)
	v_fma_f64 v[16:17], v[176:177], v[0:1], v[4:5]
	v_mul_f64 v[0:1], v[178:179], v[0:1]
	v_add_f64 v[32:33], v[8:9], v[16:17]
	s_delay_alu instid0(VALU_DEP_2)
	v_fma_f64 v[18:19], v[176:177], v[2:3], -v[0:1]
	ds_load_b128 v[0:3], v206 offset:15680
	v_add_f64 v[16:17], v[8:9], -v[16:17]
	s_waitcnt lgkmcnt(0)
	v_mul_f64 v[4:5], v[174:175], v[2:3]
	v_add_f64 v[40:41], v[10:11], v[18:19]
	v_add_f64 v[18:19], v[10:11], -v[18:19]
	s_delay_alu instid0(VALU_DEP_3) | instskip(SKIP_1) | instid1(VALU_DEP_2)
	v_fma_f64 v[20:21], v[172:173], v[0:1], v[4:5]
	v_mul_f64 v[0:1], v[174:175], v[0:1]
	v_add_f64 v[34:35], v[12:13], v[20:21]
	s_delay_alu instid0(VALU_DEP_2)
	v_fma_f64 v[22:23], v[172:173], v[2:3], -v[0:1]
	ds_load_b128 v[0:3], v206 offset:4704
	v_add_f64 v[12:13], v[12:13], -v[20:21]
	s_waitcnt lgkmcnt(0)
	v_mul_f64 v[4:5], v[190:191], v[2:3]
	v_add_f64 v[42:43], v[14:15], v[22:23]
	v_add_f64 v[8:9], v[14:15], -v[22:23]
	s_delay_alu instid0(VALU_DEP_3) | instskip(SKIP_1) | instid1(VALU_DEP_1)
	v_fma_f64 v[58:59], v[188:189], v[0:1], v[4:5]
	v_mul_f64 v[0:1], v[190:191], v[0:1]
	v_fma_f64 v[56:57], v[188:189], v[2:3], -v[0:1]
	ds_load_b128 v[0:3], v206 offset:7840
	s_waitcnt lgkmcnt(0)
	v_mul_f64 v[4:5], v[194:195], v[2:3]
	s_delay_alu instid0(VALU_DEP_1) | instskip(SKIP_1) | instid1(VALU_DEP_1)
	v_fma_f64 v[62:63], v[192:193], v[0:1], v[4:5]
	v_mul_f64 v[0:1], v[194:195], v[0:1]
	v_fma_f64 v[60:61], v[192:193], v[2:3], -v[0:1]
	ds_load_b128 v[0:3], v206 offset:20384
	s_waitcnt lgkmcnt(0)
	v_mul_f64 v[4:5], v[202:203], v[2:3]
	s_delay_alu instid0(VALU_DEP_1) | instskip(SKIP_1) | instid1(VALU_DEP_2)
	v_fma_f64 v[66:67], v[200:201], v[0:1], v[4:5]
	v_mul_f64 v[0:1], v[202:203], v[0:1]
	v_add_f64 v[48:49], v[58:59], v[66:67]
	s_delay_alu instid0(VALU_DEP_2) | instskip(SKIP_4) | instid1(VALU_DEP_2)
	v_fma_f64 v[64:65], v[200:201], v[2:3], -v[0:1]
	ds_load_b128 v[0:3], v206 offset:17248
	s_waitcnt lgkmcnt(0)
	v_mul_f64 v[4:5], v[198:199], v[2:3]
	v_add_f64 v[80:81], v[56:57], v[64:65]
	v_fma_f64 v[70:71], v[196:197], v[0:1], v[4:5]
	v_mul_f64 v[0:1], v[198:199], v[0:1]
	s_delay_alu instid0(VALU_DEP_2) | instskip(NEXT) | instid1(VALU_DEP_2)
	v_add_f64 v[50:51], v[62:63], v[70:71]
	v_fma_f64 v[68:69], v[196:197], v[2:3], -v[0:1]
	ds_load_b128 v[0:3], v206 offset:9408
	s_waitcnt lgkmcnt(0)
	v_mul_f64 v[4:5], v[154:155], v[2:3]
	v_add_f64 v[82:83], v[60:61], v[68:69]
	s_delay_alu instid0(VALU_DEP_2) | instskip(SKIP_1) | instid1(VALU_DEP_1)
	v_fma_f64 v[24:25], v[152:153], v[0:1], v[4:5]
	v_mul_f64 v[0:1], v[154:155], v[0:1]
	v_fma_f64 v[26:27], v[152:153], v[2:3], -v[0:1]
	ds_load_b128 v[0:3], v206 offset:12544
	s_waitcnt lgkmcnt(0)
	v_mul_f64 v[4:5], v[158:159], v[2:3]
	s_delay_alu instid0(VALU_DEP_1) | instskip(SKIP_1) | instid1(VALU_DEP_2)
	v_fma_f64 v[28:29], v[156:157], v[0:1], v[4:5]
	v_mul_f64 v[0:1], v[158:159], v[0:1]
	v_add_f64 v[20:21], v[28:29], -v[24:25]
	s_delay_alu instid0(VALU_DEP_2)
	v_fma_f64 v[30:31], v[156:157], v[2:3], -v[0:1]
	ds_load_b128 v[0:3], v206 offset:10976
	v_add_f64 v[36:37], v[24:25], v[28:29]
	v_add_f64 v[24:25], v[12:13], -v[16:17]
	s_waitcnt lgkmcnt(0)
	v_mul_f64 v[4:5], v[182:183], v[2:3]
	v_add_f64 v[10:11], v[20:21], -v[12:13]
	v_add_f64 v[22:23], v[30:31], -v[26:27]
	v_add_f64 v[44:45], v[26:27], v[30:31]
	v_add_f64 v[12:13], v[20:21], v[12:13]
	v_add_f64 v[26:27], v[8:9], -v[18:19]
	v_add_f64 v[28:29], v[36:37], -v[34:35]
	;; [unrolled: 1-line block ×3, first 2 shown]
	v_fma_f64 v[74:75], v[180:181], v[0:1], v[4:5]
	v_mul_f64 v[0:1], v[182:183], v[0:1]
	v_mul_f64 v[88:89], v[10:11], s[18:19]
	v_add_f64 v[14:15], v[22:23], -v[8:9]
	v_add_f64 v[8:9], v[22:23], v[8:9]
	v_add_f64 v[92:93], v[12:13], v[16:17]
	v_fma_f64 v[72:73], v[180:181], v[2:3], -v[0:1]
	ds_load_b128 v[0:3], v206 offset:14112
	v_fma_f64 v[12:13], v[24:25], s[12:13], -v[88:89]
	v_mul_f64 v[90:91], v[14:15], s[18:19]
	v_add_f64 v[94:95], v[8:9], v[18:19]
	v_mul_f64 v[8:9], v[28:29], s[2:3]
	s_waitcnt lgkmcnt(0)
	v_mul_f64 v[4:5], v[186:187], v[2:3]
	v_fma_f64 v[14:15], v[92:93], s[20:21], v[12:13]
	v_fma_f64 v[12:13], v[26:27], s[12:13], -v[90:91]
	s_delay_alu instid0(VALU_DEP_4) | instskip(NEXT) | instid1(VALU_DEP_4)
	v_fma_f64 v[8:9], v[30:31], s[16:17], -v[8:9]
	v_fma_f64 v[78:79], v[184:185], v[0:1], v[4:5]
	v_mul_f64 v[0:1], v[186:187], v[0:1]
	v_add_f64 v[4:5], v[50:51], v[48:49]
	v_fma_f64 v[12:13], v[94:95], s[20:21], v[12:13]
	s_delay_alu instid0(VALU_DEP_4) | instskip(NEXT) | instid1(VALU_DEP_4)
	v_add_f64 v[52:53], v[74:75], v[78:79]
	v_fma_f64 v[76:77], v[184:185], v[2:3], -v[0:1]
	v_add_f64 v[0:1], v[34:35], v[32:33]
	v_add_f64 v[32:33], v[32:33], -v[36:37]
	v_add_f64 v[34:35], v[44:45], -v[42:43]
	v_add_f64 v[54:55], v[52:53], v[4:5]
	v_add_f64 v[84:85], v[72:73], v[76:77]
	;; [unrolled: 1-line block ×5, first 2 shown]
	v_add_f64 v[36:37], v[40:41], -v[44:45]
	v_add_f64 v[42:43], v[42:43], -v[40:41]
	;; [unrolled: 1-line block ×3, first 2 shown]
	v_mul_f64 v[16:17], v[24:25], s[8:9]
	v_mul_f64 v[24:25], v[32:33], s[24:25]
	;; [unrolled: 1-line block ×3, first 2 shown]
	v_add_f64 v[46:47], v[44:45], v[0:1]
	ds_load_b128 v[0:3], v206
	v_add_f64 v[86:87], v[84:85], v[4:5]
	ds_load_b128 v[4:7], v206 offset:1568
	v_add_f64 v[44:45], v[18:19], -v[22:23]
	v_mul_f64 v[18:19], v[26:27], s[8:9]
	v_mul_f64 v[26:27], v[36:37], s[24:25]
	v_fma_f64 v[16:17], v[40:41], s[28:29], v[16:17]
	v_fma_f64 v[20:21], v[30:31], s[26:27], -v[24:25]
	v_fma_f64 v[24:25], v[28:29], s[2:3], v[24:25]
	v_fma_f64 v[10:11], v[42:43], s[16:17], -v[10:11]
	v_add_f64 v[36:37], v[58:59], -v[66:67]
	v_add_f64 v[66:67], v[82:83], -v[80:81]
	s_waitcnt lgkmcnt(1)
	v_add_f64 v[0:1], v[0:1], v[38:39]
	s_waitcnt lgkmcnt(0)
	v_add_f64 v[4:5], v[4:5], v[54:55]
	v_add_f64 v[2:3], v[2:3], v[46:47]
	;; [unrolled: 1-line block ×3, first 2 shown]
	v_fma_f64 v[18:19], v[44:45], s[28:29], v[18:19]
	v_fma_f64 v[22:23], v[42:43], s[26:27], -v[26:27]
	v_fma_f64 v[30:31], v[92:93], s[20:21], v[16:17]
	v_fma_f64 v[26:27], v[34:35], s[2:3], v[26:27]
	v_add_f64 v[42:43], v[56:57], -v[64:65]
	v_fma_f64 v[38:39], v[38:39], s[14:15], v[0:1]
	v_fma_f64 v[54:55], v[54:55], s[14:15], v[4:5]
	;; [unrolled: 1-line block ×4, first 2 shown]
	s_delay_alu instid0(VALU_DEP_4) | instskip(SKIP_1) | instid1(VALU_DEP_4)
	v_add_f64 v[20:21], v[20:21], v[38:39]
	v_add_f64 v[96:97], v[8:9], v[38:39]
	;; [unrolled: 1-line block ×6, first 2 shown]
	v_add_f64 v[20:21], v[20:21], -v[32:33]
	v_fma_f64 v[32:33], v[44:45], s[22:23], v[90:91]
	v_add_f64 v[8:9], v[96:97], -v[12:13]
	v_add_f64 v[12:13], v[12:13], v[96:97]
	v_add_f64 v[18:19], v[22:23], -v[30:31]
	v_add_f64 v[22:23], v[30:31], v[22:23]
	v_fma_f64 v[30:31], v[40:41], s[22:23], v[88:89]
	v_add_f64 v[40:41], v[76:77], -v[72:73]
	v_add_f64 v[72:73], v[52:53], -v[50:51]
	;; [unrolled: 1-line block ×5, first 2 shown]
	v_add_f64 v[10:11], v[14:15], v[98:99]
	v_add_f64 v[14:15], v[98:99], -v[14:15]
	v_fma_f64 v[28:29], v[94:95], s[20:21], v[32:33]
	v_add_f64 v[32:33], v[24:25], v[38:39]
	v_add_f64 v[38:39], v[60:61], -v[68:69]
	v_fma_f64 v[30:31], v[92:93], s[20:21], v[30:31]
	s_delay_alu instid0(VALU_DEP_3)
	v_add_f64 v[24:25], v[28:29], v[32:33]
	v_add_f64 v[28:29], v[32:33], -v[28:29]
	v_add_f64 v[32:33], v[62:63], -v[70:71]
	;; [unrolled: 1-line block ×4, first 2 shown]
	v_add_f64 v[38:39], v[40:41], v[38:39]
	v_add_f64 v[26:27], v[34:35], -v[30:31]
	v_add_f64 v[30:31], v[30:31], v[34:35]
	v_add_f64 v[34:35], v[78:79], -v[74:75]
	v_add_f64 v[74:75], v[84:85], -v[82:83]
	v_fma_f64 v[78:79], v[86:87], s[14:15], v[6:7]
	v_add_f64 v[46:47], v[32:33], -v[36:37]
	v_mul_f64 v[76:77], v[56:57], s[18:19]
	v_mul_f64 v[56:57], v[72:73], s[2:3]
	v_add_f64 v[38:39], v[38:39], v[42:43]
	v_add_f64 v[44:45], v[34:35], -v[32:33]
	v_add_f64 v[32:33], v[34:35], v[32:33]
	v_mul_f64 v[58:59], v[74:75], s[2:3]
	v_add_f64 v[34:35], v[36:37], -v[34:35]
	v_fma_f64 v[56:57], v[50:51], s[16:17], -v[56:57]
	v_mul_f64 v[44:45], v[44:45], s[18:19]
	v_add_f64 v[32:33], v[32:33], v[36:37]
	v_add_f64 v[36:37], v[42:43], -v[40:41]
	v_mul_f64 v[40:41], v[46:47], s[8:9]
	v_mul_f64 v[42:43], v[64:65], s[8:9]
	v_fma_f64 v[58:59], v[66:67], s[16:17], -v[58:59]
	v_add_f64 v[68:69], v[56:57], v[54:55]
	v_fma_f64 v[60:61], v[46:47], s[12:13], -v[44:45]
	v_mul_f64 v[46:47], v[48:49], s[24:25]
	v_mul_f64 v[48:49], v[52:53], s[24:25]
	v_fma_f64 v[40:41], v[34:35], s[28:29], v[40:41]
	v_fma_f64 v[42:43], v[36:37], s[28:29], v[42:43]
	v_add_f64 v[70:71], v[58:59], v[78:79]
	v_fma_f64 v[34:35], v[34:35], s[22:23], v[44:45]
	v_fma_f64 v[36:37], v[36:37], s[22:23], v[76:77]
	;; [unrolled: 1-line block ×3, first 2 shown]
	v_fma_f64 v[60:61], v[64:65], s[12:13], -v[76:77]
	v_fma_f64 v[50:51], v[50:51], s[26:27], -v[46:47]
	;; [unrolled: 1-line block ×3, first 2 shown]
	v_fma_f64 v[40:41], v[32:33], s[20:21], v[40:41]
	v_fma_f64 v[42:43], v[38:39], s[20:21], v[42:43]
	;; [unrolled: 1-line block ×4, first 2 shown]
	v_add_f64 v[58:59], v[62:63], v[70:71]
	v_fma_f64 v[60:61], v[38:39], s[20:21], v[60:61]
	v_add_f64 v[50:51], v[50:51], v[54:55]
	v_add_f64 v[52:53], v[52:53], v[78:79]
	v_add_f64 v[62:63], v[70:71], -v[62:63]
	s_delay_alu instid0(VALU_DEP_4)
	v_add_f64 v[56:57], v[68:69], -v[60:61]
	v_add_f64 v[60:61], v[60:61], v[68:69]
	v_add_f64 v[64:65], v[42:43], v[50:51]
	v_add_f64 v[66:67], v[52:53], -v[40:41]
	v_add_f64 v[68:69], v[50:51], -v[42:43]
	v_add_f64 v[70:71], v[40:41], v[52:53]
	v_fma_f64 v[40:41], v[72:73], s[2:3], v[46:47]
	v_fma_f64 v[42:43], v[74:75], s[2:3], v[48:49]
	s_mul_i32 s2, s5, 0x2ae0
	s_mul_hi_u32 s3, s4, 0x2ae0
	s_delay_alu instid0(SALU_CYCLE_1) | instskip(SKIP_1) | instid1(SALU_CYCLE_1)
	s_add_i32 s3, s3, s2
	s_mul_hi_u32 s2, s4, 0xffffdb40
	s_sub_i32 s2, s2, s4
	s_delay_alu instid0(VALU_DEP_2) | instskip(NEXT) | instid1(VALU_DEP_2)
	v_add_f64 v[36:37], v[40:41], v[54:55]
	v_add_f64 v[38:39], v[42:43], v[78:79]
	s_delay_alu instid0(VALU_DEP_2) | instskip(NEXT) | instid1(VALU_DEP_2)
	v_add_f64 v[72:73], v[34:35], v[36:37]
	v_add_f64 v[74:75], v[38:39], -v[32:33]
	v_add_f64 v[76:77], v[36:37], -v[34:35]
	v_add_f64 v[78:79], v[32:33], v[38:39]
	ds_store_b128 v206, v[0:3]
	ds_store_b128 v206, v[4:7] offset:1568
	ds_store_b128 v206, v[24:27] offset:3136
	ds_store_b128 v206, v[72:75] offset:4704
	ds_store_b128 v206, v[16:19] offset:6272
	ds_store_b128 v206, v[64:67] offset:7840
	ds_store_b128 v206, v[8:11] offset:9408
	ds_store_b128 v206, v[56:59] offset:10976
	ds_store_b128 v206, v[12:15] offset:12544
	ds_store_b128 v206, v[60:63] offset:14112
	ds_store_b128 v206, v[20:23] offset:15680
	ds_store_b128 v206, v[68:71] offset:17248
	ds_store_b128 v206, v[28:31] offset:18816
	ds_store_b128 v206, v[76:79] offset:20384
	s_waitcnt lgkmcnt(0)
	s_barrier
	buffer_gl0_inv
	s_clause 0x5
	scratch_load_b128 v[6:9], off, off offset:200
	scratch_load_b128 v[58:61], off, off offset:216
	;; [unrolled: 1-line block ×6, first 2 shown]
	ds_load_b128 v[0:3], v206
	s_clause 0x7
	scratch_load_b128 v[26:29], off, off offset:72
	scratch_load_b128 v[30:33], off, off offset:88
	;; [unrolled: 1-line block ×8, first 2 shown]
	s_waitcnt vmcnt(13) lgkmcnt(0)
	v_mul_f64 v[4:5], v[8:9], v[2:3]
	s_delay_alu instid0(VALU_DEP_1) | instskip(SKIP_1) | instid1(VALU_DEP_1)
	v_fma_f64 v[4:5], v[6:7], v[0:1], v[4:5]
	v_mul_f64 v[0:1], v[8:9], v[0:1]
	v_fma_f64 v[6:7], v[6:7], v[2:3], -v[0:1]
	ds_load_b128 v[0:3], v206 offset:10976
	s_waitcnt vmcnt(11) lgkmcnt(0)
	v_mul_f64 v[8:9], v[12:13], v[2:3]
	s_delay_alu instid0(VALU_DEP_1) | instskip(SKIP_1) | instid1(VALU_DEP_1)
	v_fma_f64 v[8:9], v[10:11], v[0:1], v[8:9]
	v_mul_f64 v[0:1], v[12:13], v[0:1]
	v_fma_f64 v[10:11], v[10:11], v[2:3], -v[0:1]
	ds_load_b128 v[0:3], v206 offset:1568
	;; [unrolled: 7-line block ×13, first 2 shown]
	s_waitcnt lgkmcnt(0)
	v_mul_f64 v[56:57], v[60:61], v[2:3]
	s_delay_alu instid0(VALU_DEP_1)
	v_fma_f64 v[56:57], v[58:59], v[0:1], v[56:57]
	v_mul_f64 v[0:1], v[60:61], v[0:1]
	scratch_load_b64 v[60:61], off, off     ; 8-byte Folded Reload
	v_fma_f64 v[58:59], v[58:59], v[2:3], -v[0:1]
	s_waitcnt vmcnt(0)
	v_mad_u64_u32 v[0:1], null, s6, v60, 0
	s_mul_i32 s6, s4, 0x2ae0
	s_delay_alu instid0(VALU_DEP_1) | instskip(NEXT) | instid1(VALU_DEP_1)
	v_mad_u64_u32 v[2:3], null, s7, v60, v[1:2]
	v_mov_b32_e32 v1, v2
	v_mad_u64_u32 v[2:3], null, s4, v255, 0
	s_mulk_i32 s4, 0xdb40
	s_delay_alu instid0(VALU_DEP_2) | instskip(NEXT) | instid1(VALU_DEP_2)
	v_lshlrev_b64 v[0:1], 4, v[0:1]
	v_mad_u64_u32 v[60:61], null, s5, v255, v[3:4]
	s_mulk_i32 s5, 0xdb40
	s_delay_alu instid0(SALU_CYCLE_1) | instskip(NEXT) | instid1(VALU_DEP_1)
	s_add_i32 s2, s2, s5
	v_mov_b32_e32 v3, v60
	s_delay_alu instid0(VALU_DEP_3) | instskip(SKIP_1) | instid1(VALU_DEP_3)
	v_add_co_u32 v60, vcc_lo, s0, v0
	v_add_co_ci_u32_e32 v61, vcc_lo, s1, v1, vcc_lo
	v_lshlrev_b64 v[0:1], 4, v[2:3]
	s_mov_b32 s0, 0x515a4f1d
	s_mov_b32 s1, 0x3f47e225
	s_delay_alu instid0(SALU_CYCLE_1) | instskip(SKIP_1) | instid1(VALU_DEP_3)
	v_mul_f64 v[2:3], v[6:7], s[0:1]
	v_mul_f64 v[6:7], v[34:35], s[0:1]
	v_add_co_u32 v60, vcc_lo, v60, v0
	v_add_co_ci_u32_e32 v61, vcc_lo, v61, v1, vcc_lo
	v_mul_f64 v[0:1], v[4:5], s[0:1]
	s_delay_alu instid0(VALU_DEP_3) | instskip(NEXT) | instid1(VALU_DEP_3)
	v_add_co_u32 v4, vcc_lo, v60, s6
	v_add_co_ci_u32_e32 v5, vcc_lo, s3, v61, vcc_lo
	global_store_b128 v[60:61], v[0:3], off
	v_mul_f64 v[0:1], v[8:9], s[0:1]
	v_mul_f64 v[2:3], v[10:11], s[0:1]
	;; [unrolled: 1-line block ×3, first 2 shown]
	global_store_b128 v[4:5], v[0:3], off
	v_mul_f64 v[0:1], v[12:13], s[0:1]
	v_mul_f64 v[2:3], v[14:15], s[0:1]
	v_add_co_u32 v4, vcc_lo, v4, s4
	v_add_co_ci_u32_e32 v5, vcc_lo, s2, v5, vcc_lo
	v_mul_f64 v[12:13], v[40:41], s[0:1]
	v_mul_f64 v[14:15], v[42:43], s[0:1]
	global_store_b128 v[4:5], v[0:3], off
	v_mul_f64 v[0:1], v[16:17], s[0:1]
	v_mul_f64 v[2:3], v[18:19], s[0:1]
	v_add_co_u32 v4, vcc_lo, v4, s6
	v_add_co_ci_u32_e32 v5, vcc_lo, s3, v5, vcc_lo
	v_mul_f64 v[16:17], v[44:45], s[0:1]
	v_mul_f64 v[18:19], v[46:47], s[0:1]
	global_store_b128 v[4:5], v[0:3], off
	v_mul_f64 v[0:1], v[20:21], s[0:1]
	v_mul_f64 v[2:3], v[22:23], s[0:1]
	v_add_co_u32 v4, vcc_lo, v4, s4
	v_add_co_ci_u32_e32 v5, vcc_lo, s2, v5, vcc_lo
	v_mul_f64 v[20:21], v[48:49], s[0:1]
	s_delay_alu instid0(VALU_DEP_3) | instskip(NEXT) | instid1(VALU_DEP_3)
	v_add_co_u32 v8, vcc_lo, v4, s6
	v_add_co_ci_u32_e32 v9, vcc_lo, s3, v5, vcc_lo
	v_mul_f64 v[22:23], v[50:51], s[0:1]
	global_store_b128 v[4:5], v[0:3], off
	v_mul_f64 v[0:1], v[24:25], s[0:1]
	v_mul_f64 v[2:3], v[26:27], s[0:1]
	;; [unrolled: 1-line block ×3, first 2 shown]
	v_add_co_u32 v32, vcc_lo, v8, s4
	v_add_co_ci_u32_e32 v33, vcc_lo, s2, v9, vcc_lo
	v_mul_f64 v[24:25], v[52:53], s[0:1]
	v_mul_f64 v[26:27], v[54:55], s[0:1]
	s_delay_alu instid0(VALU_DEP_4) | instskip(NEXT) | instid1(VALU_DEP_4)
	v_add_co_u32 v34, vcc_lo, v32, s6
	v_add_co_ci_u32_e32 v35, vcc_lo, s3, v33, vcc_lo
	global_store_b128 v[8:9], v[0:3], off
	v_mul_f64 v[0:1], v[28:29], s[0:1]
	v_mul_f64 v[2:3], v[30:31], s[0:1]
	;; [unrolled: 1-line block ×5, first 2 shown]
	global_store_b128 v[32:33], v[0:3], off
	v_add_co_u32 v0, vcc_lo, v34, s4
	v_add_co_ci_u32_e32 v1, vcc_lo, s2, v35, vcc_lo
	global_store_b128 v[34:35], v[4:7], off
	v_add_co_u32 v2, vcc_lo, v0, s6
	v_add_co_ci_u32_e32 v3, vcc_lo, s3, v1, vcc_lo
	s_delay_alu instid0(VALU_DEP_2) | instskip(NEXT) | instid1(VALU_DEP_2)
	v_add_co_u32 v32, vcc_lo, v2, s4
	v_add_co_ci_u32_e32 v33, vcc_lo, s2, v3, vcc_lo
	s_delay_alu instid0(VALU_DEP_2) | instskip(NEXT) | instid1(VALU_DEP_2)
	;; [unrolled: 3-line block ×4, first 2 shown]
	v_add_co_u32 v34, vcc_lo, v6, s6
	v_add_co_ci_u32_e32 v35, vcc_lo, s3, v7, vcc_lo
	global_store_b128 v[0:1], v[8:11], off
	global_store_b128 v[2:3], v[12:15], off
	;; [unrolled: 1-line block ×6, first 2 shown]
.LBB0_2:
	s_nop 0
	s_sendmsg sendmsg(MSG_DEALLOC_VGPRS)
	s_endpgm
	.section	.rodata,"a",@progbits
	.p2align	6, 0x0
	.amdhsa_kernel bluestein_single_back_len1372_dim1_dp_op_CI_CI
		.amdhsa_group_segment_fixed_size 43904
		.amdhsa_private_segment_fixed_size 292
		.amdhsa_kernarg_size 104
		.amdhsa_user_sgpr_count 15
		.amdhsa_user_sgpr_dispatch_ptr 0
		.amdhsa_user_sgpr_queue_ptr 0
		.amdhsa_user_sgpr_kernarg_segment_ptr 1
		.amdhsa_user_sgpr_dispatch_id 0
		.amdhsa_user_sgpr_private_segment_size 0
		.amdhsa_wavefront_size32 1
		.amdhsa_uses_dynamic_stack 0
		.amdhsa_enable_private_segment 1
		.amdhsa_system_sgpr_workgroup_id_x 1
		.amdhsa_system_sgpr_workgroup_id_y 0
		.amdhsa_system_sgpr_workgroup_id_z 0
		.amdhsa_system_sgpr_workgroup_info 0
		.amdhsa_system_vgpr_workitem_id 0
		.amdhsa_next_free_vgpr 256
		.amdhsa_next_free_sgpr 30
		.amdhsa_reserve_vcc 1
		.amdhsa_float_round_mode_32 0
		.amdhsa_float_round_mode_16_64 0
		.amdhsa_float_denorm_mode_32 3
		.amdhsa_float_denorm_mode_16_64 3
		.amdhsa_dx10_clamp 1
		.amdhsa_ieee_mode 1
		.amdhsa_fp16_overflow 0
		.amdhsa_workgroup_processor_mode 1
		.amdhsa_memory_ordered 1
		.amdhsa_forward_progress 0
		.amdhsa_shared_vgpr_count 0
		.amdhsa_exception_fp_ieee_invalid_op 0
		.amdhsa_exception_fp_denorm_src 0
		.amdhsa_exception_fp_ieee_div_zero 0
		.amdhsa_exception_fp_ieee_overflow 0
		.amdhsa_exception_fp_ieee_underflow 0
		.amdhsa_exception_fp_ieee_inexact 0
		.amdhsa_exception_int_div_zero 0
	.end_amdhsa_kernel
	.text
.Lfunc_end0:
	.size	bluestein_single_back_len1372_dim1_dp_op_CI_CI, .Lfunc_end0-bluestein_single_back_len1372_dim1_dp_op_CI_CI
                                        ; -- End function
	.section	.AMDGPU.csdata,"",@progbits
; Kernel info:
; codeLenInByte = 20276
; NumSgprs: 32
; NumVgprs: 256
; ScratchSize: 292
; MemoryBound: 0
; FloatMode: 240
; IeeeMode: 1
; LDSByteSize: 43904 bytes/workgroup (compile time only)
; SGPRBlocks: 3
; VGPRBlocks: 31
; NumSGPRsForWavesPerEU: 32
; NumVGPRsForWavesPerEU: 256
; Occupancy: 4
; WaveLimiterHint : 1
; COMPUTE_PGM_RSRC2:SCRATCH_EN: 1
; COMPUTE_PGM_RSRC2:USER_SGPR: 15
; COMPUTE_PGM_RSRC2:TRAP_HANDLER: 0
; COMPUTE_PGM_RSRC2:TGID_X_EN: 1
; COMPUTE_PGM_RSRC2:TGID_Y_EN: 0
; COMPUTE_PGM_RSRC2:TGID_Z_EN: 0
; COMPUTE_PGM_RSRC2:TIDIG_COMP_CNT: 0
	.text
	.p2alignl 7, 3214868480
	.fill 96, 4, 3214868480
	.type	__hip_cuid_9162dbb573687aa7,@object ; @__hip_cuid_9162dbb573687aa7
	.section	.bss,"aw",@nobits
	.globl	__hip_cuid_9162dbb573687aa7
__hip_cuid_9162dbb573687aa7:
	.byte	0                               ; 0x0
	.size	__hip_cuid_9162dbb573687aa7, 1

	.ident	"AMD clang version 19.0.0git (https://github.com/RadeonOpenCompute/llvm-project roc-6.4.0 25133 c7fe45cf4b819c5991fe208aaa96edf142730f1d)"
	.section	".note.GNU-stack","",@progbits
	.addrsig
	.addrsig_sym __hip_cuid_9162dbb573687aa7
	.amdgpu_metadata
---
amdhsa.kernels:
  - .args:
      - .actual_access:  read_only
        .address_space:  global
        .offset:         0
        .size:           8
        .value_kind:     global_buffer
      - .actual_access:  read_only
        .address_space:  global
        .offset:         8
        .size:           8
        .value_kind:     global_buffer
      - .actual_access:  read_only
        .address_space:  global
        .offset:         16
        .size:           8
        .value_kind:     global_buffer
      - .actual_access:  read_only
        .address_space:  global
        .offset:         24
        .size:           8
        .value_kind:     global_buffer
      - .actual_access:  read_only
        .address_space:  global
        .offset:         32
        .size:           8
        .value_kind:     global_buffer
      - .offset:         40
        .size:           8
        .value_kind:     by_value
      - .address_space:  global
        .offset:         48
        .size:           8
        .value_kind:     global_buffer
      - .address_space:  global
        .offset:         56
        .size:           8
        .value_kind:     global_buffer
      - .address_space:  global
        .offset:         64
        .size:           8
        .value_kind:     global_buffer
      - .address_space:  global
        .offset:         72
        .size:           8
        .value_kind:     global_buffer
      - .offset:         80
        .size:           4
        .value_kind:     by_value
      - .address_space:  global
        .offset:         88
        .size:           8
        .value_kind:     global_buffer
      - .address_space:  global
        .offset:         96
        .size:           8
        .value_kind:     global_buffer
    .group_segment_fixed_size: 43904
    .kernarg_segment_align: 8
    .kernarg_segment_size: 104
    .language:       OpenCL C
    .language_version:
      - 2
      - 0
    .max_flat_workgroup_size: 196
    .name:           bluestein_single_back_len1372_dim1_dp_op_CI_CI
    .private_segment_fixed_size: 292
    .sgpr_count:     32
    .sgpr_spill_count: 0
    .symbol:         bluestein_single_back_len1372_dim1_dp_op_CI_CI.kd
    .uniform_work_group_size: 1
    .uses_dynamic_stack: false
    .vgpr_count:     256
    .vgpr_spill_count: 72
    .wavefront_size: 32
    .workgroup_processor_mode: 1
amdhsa.target:   amdgcn-amd-amdhsa--gfx1100
amdhsa.version:
  - 1
  - 2
...

	.end_amdgpu_metadata
